;; amdgpu-corpus repo=ROCm/rocFFT kind=compiled arch=gfx90a opt=O3
	.text
	.amdgcn_target "amdgcn-amd-amdhsa--gfx90a"
	.amdhsa_code_object_version 6
	.protected	bluestein_single_back_len1650_dim1_dp_op_CI_CI ; -- Begin function bluestein_single_back_len1650_dim1_dp_op_CI_CI
	.globl	bluestein_single_back_len1650_dim1_dp_op_CI_CI
	.p2align	8
	.type	bluestein_single_back_len1650_dim1_dp_op_CI_CI,@function
bluestein_single_back_len1650_dim1_dp_op_CI_CI: ; @bluestein_single_back_len1650_dim1_dp_op_CI_CI
; %bb.0:
	s_load_dwordx4 s[8:11], s[4:5], 0x28
	v_mul_u32_u24_e32 v1, 0x254, v0
	v_add_u32_sdwa v6, s6, v1 dst_sel:DWORD dst_unused:UNUSED_PAD src0_sel:DWORD src1_sel:WORD_1
	v_mov_b32_e32 v7, 0
	s_waitcnt lgkmcnt(0)
	v_cmp_gt_u64_e32 vcc, s[8:9], v[6:7]
	s_and_saveexec_b64 s[0:1], vcc
	s_cbranch_execz .LBB0_23
; %bb.1:
	s_load_dwordx4 s[12:15], s[4:5], 0x18
	s_load_dwordx2 s[16:17], s[4:5], 0x0
	s_movk_i32 s6, 0x6e
	v_mul_lo_u16_sdwa v1, v1, s6 dst_sel:DWORD dst_unused:UNUSED_PAD src0_sel:WORD_1 src1_sel:DWORD
	v_sub_u16_e32 v214, v0, v1
	s_waitcnt lgkmcnt(0)
	s_load_dwordx4 s[0:3], s[12:13], 0x0
	v_lshlrev_b32_e32 v158, 4, v214
	v_accvgpr_write_b32 a2, v6
	s_waitcnt lgkmcnt(0)
	v_mad_u64_u32 v[0:1], s[6:7], s2, v6, 0
	v_mov_b32_e32 v4, v1
	v_mad_u64_u32 v[2:3], s[6:7], s0, v214, 0
	v_mad_u64_u32 v[4:5], s[2:3], s3, v6, v[4:5]
	v_mov_b32_e32 v1, v4
	v_mov_b32_e32 v4, v3
	v_mad_u64_u32 v[4:5], s[2:3], s1, v214, v[4:5]
	v_lshlrev_b64 v[0:1], 4, v[0:1]
	v_mov_b32_e32 v3, v4
	v_mov_b32_e32 v4, s11
	v_add_co_u32_e32 v5, vcc, s10, v0
	v_addc_co_u32_e32 v4, vcc, v4, v1, vcc
	v_lshlrev_b64 v[0:1], 4, v[2:3]
	s_mul_i32 s6, s1, 0x96
	s_mul_hi_u32 s7, s0, 0x96
	v_add_co_u32_e32 v8, vcc, v5, v0
	v_mov_b32_e32 v0, s17
	v_add_co_u32_e64 v64, s[2:3], s16, v158
	s_add_i32 s7, s7, s6
	s_mul_i32 s6, s0, 0x96
	v_addc_co_u32_e32 v9, vcc, v4, v1, vcc
	v_addc_co_u32_e64 v65, vcc, 0, v0, s[2:3]
	s_lshl_b64 s[12:13], s[6:7], 4
	v_mov_b32_e32 v54, s13
	v_add_co_u32_e32 v10, vcc, s12, v8
	v_addc_co_u32_e32 v11, vcc, v9, v54, vcc
	v_add_co_u32_e32 v12, vcc, s12, v10
	v_addc_co_u32_e32 v13, vcc, v11, v54, vcc
	s_movk_i32 s6, 0x1000
	v_add_co_u32_e32 v16, vcc, s6, v64
	v_addc_co_u32_e32 v17, vcc, 0, v65, vcc
	global_load_dwordx4 v[4:7], v[8:9], off
	global_load_dwordx4 v[0:3], v[10:11], off
	global_load_dwordx4 v[60:63], v158, s[16:17]
	global_load_dwordx4 v[70:73], v158, s[16:17] offset:2400
	s_movk_i32 s6, 0x2000
	global_load_dwordx4 v[8:11], v[12:13], off
	v_add_co_u32_e32 v12, vcc, s12, v12
	v_addc_co_u32_e32 v13, vcc, v13, v54, vcc
	v_add_co_u32_e32 v14, vcc, s12, v12
	v_addc_co_u32_e32 v15, vcc, v13, v54, vcc
	;; [unrolled: 2-line block ×3, first 2 shown]
	global_load_dwordx4 v[86:89], v[16:17], off offset:704
	global_load_dwordx4 v[78:81], v[16:17], off offset:3104
	global_load_dwordx4 v[26:29], v[12:13], off
	global_load_dwordx4 v[30:33], v[14:15], off
	v_add_co_u32_e32 v12, vcc, s12, v14
	v_addc_co_u32_e32 v13, vcc, v15, v54, vcc
	global_load_dwordx4 v[34:37], v[12:13], off
	global_load_dwordx4 v[98:101], v[18:19], off offset:1408
	global_load_dwordx4 v[82:85], v[18:19], off offset:3808
	v_add_co_u32_e32 v12, vcc, s12, v12
	v_addc_co_u32_e32 v13, vcc, v13, v54, vcc
	s_movk_i32 s6, 0x3000
	v_add_co_u32_e32 v20, vcc, s6, v64
	v_addc_co_u32_e32 v21, vcc, 0, v65, vcc
	global_load_dwordx4 v[38:41], v[12:13], off
	v_add_co_u32_e32 v12, vcc, s12, v12
	v_addc_co_u32_e32 v13, vcc, v13, v54, vcc
	s_movk_i32 s6, 0x4000
	v_add_co_u32_e32 v22, vcc, s6, v64
	v_addc_co_u32_e32 v23, vcc, 0, v65, vcc
	global_load_dwordx4 v[66:69], v[20:21], off offset:2112
	global_load_dwordx4 v[42:45], v[12:13], off
	v_add_co_u32_e32 v12, vcc, s12, v12
	v_addc_co_u32_e32 v13, vcc, v13, v54, vcc
	global_load_dwordx4 v[46:49], v[12:13], off
	global_load_dwordx4 v[102:105], v[22:23], off offset:416
	global_load_dwordx4 v[74:77], v[22:23], off offset:2816
	v_add_co_u32_e32 v12, vcc, s12, v12
	v_addc_co_u32_e32 v13, vcc, v13, v54, vcc
	s_movk_i32 s6, 0x5000
	v_add_co_u32_e32 v24, vcc, s6, v64
	v_addc_co_u32_e32 v25, vcc, 0, v65, vcc
	global_load_dwordx4 v[50:53], v[12:13], off
	global_load_dwordx4 v[90:93], v[24:25], off offset:1120
	v_add_co_u32_e32 v12, vcc, s12, v12
	v_addc_co_u32_e32 v13, vcc, v13, v54, vcc
	global_load_dwordx4 v[54:57], v[12:13], off
	global_load_dwordx4 v[94:97], v[24:25], off offset:3520
	s_load_dwordx2 s[6:7], s[4:5], 0x38
	s_load_dwordx4 s[8:11], s[14:15], 0x0
	v_cmp_gt_u16_e32 vcc, 40, v214
	s_waitcnt vmcnt(19)
	v_mul_f64 v[58:59], v[6:7], v[62:63]
	v_fmac_f64_e32 v[58:59], v[4:5], v[60:61]
	v_mul_f64 v[4:5], v[4:5], v[62:63]
	v_accvgpr_write_b32 a36, v60
	v_accvgpr_write_b32 a37, v61
	;; [unrolled: 1-line block ×4, first 2 shown]
	v_fma_f64 v[60:61], v[6:7], v[60:61], -v[4:5]
	s_waitcnt vmcnt(18)
	v_mul_f64 v[4:5], v[2:3], v[72:73]
	v_fmac_f64_e32 v[4:5], v[0:1], v[70:71]
	v_mul_f64 v[0:1], v[0:1], v[72:73]
	v_fma_f64 v[6:7], v[2:3], v[70:71], -v[0:1]
	v_accvgpr_write_b32 a8, v70
	v_accvgpr_write_b32 a9, v71
	;; [unrolled: 1-line block ×3, first 2 shown]
	s_waitcnt vmcnt(16)
	v_mul_f64 v[0:1], v[10:11], v[88:89]
	v_mul_f64 v[2:3], v[8:9], v[88:89]
	v_fmac_f64_e32 v[0:1], v[8:9], v[86:87]
	v_fma_f64 v[2:3], v[10:11], v[86:87], -v[2:3]
	ds_write_b128 v158, v[0:3] offset:4800
	s_waitcnt vmcnt(14)
	v_mul_f64 v[0:1], v[28:29], v[80:81]
	v_mul_f64 v[2:3], v[26:27], v[80:81]
	v_fmac_f64_e32 v[0:1], v[26:27], v[78:79]
	v_fma_f64 v[2:3], v[28:29], v[78:79], -v[2:3]
	ds_write_b128 v158, v[0:3] offset:7200
	;; [unrolled: 6-line block ×4, first 2 shown]
	v_accvgpr_write_b32 a24, v86
	v_accvgpr_write_b32 a16, v78
	;; [unrolled: 1-line block ×7, first 2 shown]
	s_waitcnt vmcnt(8)
	v_mul_f64 v[0:1], v[40:41], v[68:69]
	v_mul_f64 v[2:3], v[38:39], v[68:69]
	v_fmac_f64_e32 v[0:1], v[38:39], v[66:67]
	v_fma_f64 v[2:3], v[40:41], v[66:67], -v[2:3]
	ds_write_b128 v158, v[0:3] offset:14400
	s_waitcnt vmcnt(5)
	v_mul_f64 v[0:1], v[44:45], v[104:105]
	v_mul_f64 v[2:3], v[42:43], v[104:105]
	v_fmac_f64_e32 v[0:1], v[42:43], v[102:103]
	v_fma_f64 v[2:3], v[44:45], v[102:103], -v[2:3]
	ds_write_b128 v158, v[0:3] offset:16800
	;; [unrolled: 6-line block ×3, first 2 shown]
	v_accvgpr_write_b32 a4, v66
	v_accvgpr_write_b32 a44, v102
	s_waitcnt vmcnt(2)
	v_mul_f64 v[0:1], v[52:53], v[92:93]
	v_mul_f64 v[2:3], v[50:51], v[92:93]
	v_fmac_f64_e32 v[0:1], v[50:51], v[90:91]
	v_fma_f64 v[2:3], v[52:53], v[90:91], -v[2:3]
	v_accvgpr_write_b32 a12, v74
	v_accvgpr_write_b32 a28, v90
	ds_write_b128 v158, v[0:3] offset:21600
	s_waitcnt vmcnt(0)
	v_mul_f64 v[0:1], v[56:57], v[96:97]
	v_mul_f64 v[2:3], v[54:55], v[96:97]
	v_accvgpr_write_b32 a32, v94
	v_accvgpr_write_b32 a27, v89
	;; [unrolled: 1-line block ×23, first 2 shown]
	v_fmac_f64_e32 v[0:1], v[54:55], v[94:95]
	v_accvgpr_write_b32 a33, v95
	v_accvgpr_write_b32 a34, v96
	;; [unrolled: 1-line block ×3, first 2 shown]
	v_fma_f64 v[2:3], v[56:57], v[94:95], -v[2:3]
	ds_write_b128 v158, v[58:61]
	ds_write_b128 v158, v[4:7] offset:2400
	ds_write_b128 v158, v[0:3] offset:24000
	s_and_saveexec_b64 s[14:15], vcc
	s_cbranch_execz .LBB0_3
; %bb.2:
	v_mov_b32_e32 v0, 0xffffa920
	s_mulk_i32 s1, 0xa920
	v_mad_u64_u32 v[4:5], s[18:19], s0, v0, v[12:13]
	s_sub_i32 s0, s1, s0
	v_add_u32_e32 v5, s0, v5
	v_mov_b32_e32 v86, s13
	v_add_co_u32_e64 v26, s[0:1], s12, v4
	v_addc_co_u32_e64 v27, s[0:1], v5, v86, s[0:1]
	v_add_co_u32_e64 v30, s[0:1], s12, v26
	v_addc_co_u32_e64 v31, s[0:1], v27, v86, s[0:1]
	;; [unrolled: 2-line block ×3, first 2 shown]
	global_load_dwordx4 v[0:3], v[4:5], off
	s_nop 0
	global_load_dwordx4 v[4:7], v[26:27], off
	global_load_dwordx4 v[12:15], v[64:65], off offset:1760
	global_load_dwordx4 v[8:11], v[16:17], off offset:64
	s_waitcnt vmcnt(1)
	v_mul_f64 v[94:95], v[2:3], v[14:15]
	global_load_dwordx4 v[26:29], v[30:31], off
	s_nop 0
	global_load_dwordx4 v[30:33], v[42:43], off
	global_load_dwordx4 v[34:37], v[16:17], off offset:2464
	global_load_dwordx4 v[38:41], v[18:19], off offset:768
	v_add_co_u32_e64 v16, s[0:1], s12, v42
	v_addc_co_u32_e64 v17, s[0:1], v43, v86, s[0:1]
	global_load_dwordx4 v[42:45], v[16:17], off
	v_add_co_u32_e64 v16, s[0:1], s12, v16
	v_addc_co_u32_e64 v17, s[0:1], v17, v86, s[0:1]
	v_add_co_u32_e64 v58, s[0:1], s12, v16
	v_addc_co_u32_e64 v59, s[0:1], v17, v86, s[0:1]
	global_load_dwordx4 v[46:49], v[16:17], off
	global_load_dwordx4 v[50:53], v[18:19], off offset:3168
	global_load_dwordx4 v[54:57], v[20:21], off offset:1472
	v_add_co_u32_e64 v62, s[0:1], s12, v58
	v_addc_co_u32_e64 v63, s[0:1], v59, v86, s[0:1]
	global_load_dwordx4 v[16:19], v[58:59], off
	s_nop 0
	global_load_dwordx4 v[58:61], v[62:63], off
	global_load_dwordx4 v[66:69], v[20:21], off offset:3872
	global_load_dwordx4 v[70:73], v[22:23], off offset:2176
	v_add_co_u32_e64 v62, s[0:1], s12, v62
	v_addc_co_u32_e64 v63, s[0:1], v63, v86, s[0:1]
	global_load_dwordx4 v[20:23], v[62:63], off
	v_add_co_u32_e64 v62, s[0:1], s12, v62
	v_addc_co_u32_e64 v63, s[0:1], v63, v86, s[0:1]
	global_load_dwordx4 v[74:77], v[62:63], off
	global_load_dwordx4 v[78:81], v[24:25], off offset:480
	global_load_dwordx4 v[82:85], v[24:25], off offset:2880
	v_add_co_u32_e64 v24, s[0:1], s12, v62
	v_addc_co_u32_e64 v25, s[0:1], v63, v86, s[0:1]
	s_movk_i32 s0, 0x6000
	v_add_co_u32_e64 v62, s[0:1], s0, v64
	v_addc_co_u32_e64 v63, s[0:1], 0, v65, s[0:1]
	global_load_dwordx4 v[86:89], v[62:63], off offset:1184
	global_load_dwordx4 v[90:93], v[24:25], off
	v_mul_f64 v[14:15], v[0:1], v[14:15]
	v_fmac_f64_e32 v[94:95], v[0:1], v[12:13]
	v_fma_f64 v[96:97], v[2:3], v[12:13], -v[14:15]
	s_waitcnt vmcnt(18)
	v_mul_f64 v[0:1], v[6:7], v[10:11]
	v_mul_f64 v[2:3], v[4:5], v[10:11]
	v_fmac_f64_e32 v[0:1], v[4:5], v[8:9]
	v_fma_f64 v[2:3], v[6:7], v[8:9], -v[2:3]
	ds_write_b128 v158, v[0:3] offset:4160
	ds_write_b128 v158, v[94:97] offset:1760
	s_waitcnt vmcnt(15)
	v_mul_f64 v[4:5], v[28:29], v[36:37]
	s_waitcnt vmcnt(14)
	v_mul_f64 v[0:1], v[32:33], v[40:41]
	v_mul_f64 v[2:3], v[30:31], v[40:41]
	v_fmac_f64_e32 v[0:1], v[30:31], v[38:39]
	v_fma_f64 v[2:3], v[32:33], v[38:39], -v[2:3]
	ds_write_b128 v158, v[0:3] offset:8960
	v_mul_f64 v[6:7], v[26:27], v[36:37]
	v_fmac_f64_e32 v[4:5], v[26:27], v[34:35]
	v_fma_f64 v[6:7], v[28:29], v[34:35], -v[6:7]
	ds_write_b128 v158, v[4:7] offset:6560
	s_waitcnt vmcnt(11)
	v_mul_f64 v[0:1], v[44:45], v[52:53]
	v_mul_f64 v[2:3], v[42:43], v[52:53]
	v_fmac_f64_e32 v[0:1], v[42:43], v[50:51]
	v_fma_f64 v[2:3], v[44:45], v[50:51], -v[2:3]
	ds_write_b128 v158, v[0:3] offset:11360
	s_waitcnt vmcnt(10)
	v_mul_f64 v[0:1], v[48:49], v[56:57]
	;; [unrolled: 6-line block ×7, first 2 shown]
	v_mul_f64 v[2:3], v[90:91], v[88:89]
	v_fmac_f64_e32 v[0:1], v[90:91], v[86:87]
	v_fma_f64 v[2:3], v[92:93], v[86:87], -v[2:3]
	ds_write_b128 v158, v[0:3] offset:25760
.LBB0_3:
	s_or_b64 exec, exec, s[14:15]
	s_waitcnt lgkmcnt(0)
	s_barrier
	ds_read_b128 v[24:27], v158
	ds_read_b128 v[32:35], v158 offset:2400
	ds_read_b128 v[20:23], v158 offset:4800
	;; [unrolled: 1-line block ×10, first 2 shown]
                                        ; implicit-def: $vgpr68_vgpr69
                                        ; implicit-def: $vgpr72_vgpr73
                                        ; implicit-def: $vgpr76_vgpr77
                                        ; implicit-def: $vgpr80_vgpr81
                                        ; implicit-def: $vgpr84_vgpr85
                                        ; implicit-def: $vgpr88_vgpr89
                                        ; implicit-def: $vgpr92_vgpr93
                                        ; implicit-def: $vgpr96_vgpr97
                                        ; implicit-def: $vgpr100_vgpr101
                                        ; implicit-def: $vgpr104_vgpr105
                                        ; implicit-def: $vgpr108_vgpr109
	s_and_saveexec_b64 s[0:1], vcc
	s_cbranch_execz .LBB0_5
; %bb.4:
	ds_read_b128 v[68:71], v158 offset:1760
	ds_read_b128 v[72:75], v158 offset:4160
	;; [unrolled: 1-line block ×11, first 2 shown]
.LBB0_5:
	s_or_b64 exec, exec, s[0:1]
	s_waitcnt lgkmcnt(9)
	v_add_f64 v[4:5], v[24:25], v[32:33]
	v_add_f64 v[6:7], v[26:27], v[34:35]
	s_waitcnt lgkmcnt(8)
	v_add_f64 v[4:5], v[4:5], v[20:21]
	v_add_f64 v[6:7], v[6:7], v[22:23]
	;; [unrolled: 3-line block ×5, first 2 shown]
	s_waitcnt lgkmcnt(4)
	v_add_f64 v[4:5], v[4:5], v[44:45]
	s_movk_i32 s0, 0x6e
	v_add_f64 v[6:7], v[6:7], v[46:47]
	s_waitcnt lgkmcnt(3)
	v_add_f64 v[4:5], v[4:5], v[8:9]
	v_add_co_u32_e64 v208, s[0:1], s0, v214
	v_add_f64 v[6:7], v[6:7], v[10:11]
	s_waitcnt lgkmcnt(2)
	v_add_f64 v[4:5], v[4:5], v[16:17]
	s_mov_b32 s24, 0xf8bb580b
	s_mov_b32 s34, 0x8eee2c13
	;; [unrolled: 1-line block ×5, first 2 shown]
	s_load_dwordx2 s[12:13], s[4:5], 0x8
	v_add_f64 v[6:7], v[6:7], v[18:19]
	s_waitcnt lgkmcnt(0)
	v_add_f64 v[4:5], v[4:5], v[28:29]
	v_add_f64 v[42:43], v[34:35], v[38:39]
	v_add_f64 v[34:35], v[34:35], -v[38:39]
	s_mov_b32 s25, 0xbfe14ced
	s_mov_b32 s0, 0x8764f0ba
	;; [unrolled: 1-line block ×10, first 2 shown]
	v_add_f64 v[6:7], v[6:7], v[30:31]
	v_add_f64 v[4:5], v[4:5], v[36:37]
	;; [unrolled: 1-line block ×3, first 2 shown]
	v_add_f64 v[32:33], v[32:33], -v[36:37]
	v_mul_f64 v[36:37], v[34:35], s[24:25]
	s_mov_b32 s1, 0x3feaeb8c
	v_mul_f64 v[56:57], v[34:35], s[34:35]
	s_mov_b32 s5, 0x3fda9628
	;; [unrolled: 2-line block ×5, first 2 shown]
	v_add_f64 v[6:7], v[6:7], v[38:39]
	v_fma_f64 v[38:39], v[40:41], s[0:1], -v[36:37]
	v_mul_f64 v[52:53], v[32:33], s[24:25]
	v_fmac_f64_e32 v[36:37], s[0:1], v[40:41]
	v_fma_f64 v[58:59], v[40:41], s[4:5], -v[56:57]
	v_mul_f64 v[60:61], v[32:33], s[34:35]
	v_fmac_f64_e32 v[56:57], s[4:5], v[40:41]
	;; [unrolled: 3-line block ×5, first 2 shown]
	v_add_f64 v[38:39], v[24:25], v[38:39]
	v_fma_f64 v[54:55], s[0:1], v[42:43], v[52:53]
	v_add_f64 v[36:37], v[24:25], v[36:37]
	v_fma_f64 v[52:53], v[42:43], s[0:1], -v[52:53]
	v_add_f64 v[58:59], v[24:25], v[58:59]
	v_fma_f64 v[62:63], s[4:5], v[42:43], v[60:61]
	v_add_f64 v[56:57], v[24:25], v[56:57]
	v_fma_f64 v[60:61], v[42:43], s[4:5], -v[60:61]
	;; [unrolled: 4-line block ×5, first 2 shown]
	v_add_f64 v[34:35], v[22:23], v[30:31]
	v_add_f64 v[22:23], v[22:23], -v[30:31]
	v_add_f64 v[54:55], v[26:27], v[54:55]
	v_add_f64 v[52:53], v[26:27], v[52:53]
	;; [unrolled: 1-line block ×11, first 2 shown]
	v_add_f64 v[20:21], v[20:21], -v[28:29]
	v_mul_f64 v[28:29], v[22:23], s[34:35]
	v_fma_f64 v[30:31], v[32:33], s[4:5], -v[28:29]
	v_add_f64 v[30:31], v[30:31], v[38:39]
	v_mul_f64 v[38:39], v[20:21], s[34:35]
	v_fmac_f64_e32 v[28:29], s[4:5], v[32:33]
	v_fma_f64 v[40:41], s[4:5], v[34:35], v[38:39]
	v_add_f64 v[28:29], v[28:29], v[36:37]
	v_fma_f64 v[36:37], v[34:35], s[4:5], -v[38:39]
	v_mul_f64 v[38:39], v[22:23], s[26:27]
	v_add_f64 v[36:37], v[36:37], v[52:53]
	v_fma_f64 v[42:43], v[32:33], s[18:19], -v[38:39]
	v_mul_f64 v[52:53], v[20:21], s[26:27]
	v_fmac_f64_e32 v[38:39], s[18:19], v[32:33]
	s_mov_b32 s41, 0x3fd207e7
	s_mov_b32 s40, s28
	v_add_f64 v[40:41], v[40:41], v[54:55]
	v_fma_f64 v[54:55], s[18:19], v[34:35], v[52:53]
	v_add_f64 v[38:39], v[38:39], v[56:57]
	v_fma_f64 v[52:53], v[34:35], s[18:19], -v[52:53]
	v_mul_f64 v[56:57], v[22:23], s[40:41]
	v_add_f64 v[42:43], v[42:43], v[58:59]
	v_add_f64 v[52:53], v[52:53], v[60:61]
	v_fma_f64 v[58:59], v[32:33], s[20:21], -v[56:57]
	v_mul_f64 v[60:61], v[20:21], s[40:41]
	v_fmac_f64_e32 v[56:57], s[20:21], v[32:33]
	s_mov_b32 s39, 0x3fefac9e
	s_mov_b32 s38, s22
	v_add_f64 v[54:55], v[54:55], v[62:63]
	v_fma_f64 v[62:63], s[20:21], v[34:35], v[60:61]
	v_add_f64 v[56:57], v[56:57], v[66:67]
	v_fma_f64 v[60:61], v[34:35], s[20:21], -v[60:61]
	v_mul_f64 v[66:67], v[22:23], s[38:39]
	s_mov_b32 s31, 0x3fe14ced
	s_mov_b32 s30, s24
	v_add_f64 v[58:59], v[58:59], v[112:113]
	v_add_f64 v[60:61], v[60:61], v[114:115]
	v_fma_f64 v[112:113], v[32:33], s[14:15], -v[66:67]
	v_mul_f64 v[114:115], v[20:21], s[38:39]
	v_mul_f64 v[20:21], v[20:21], s[30:31]
	v_add_f64 v[112:113], v[112:113], v[120:121]
	v_fmac_f64_e32 v[66:67], s[14:15], v[32:33]
	v_mul_f64 v[22:23], v[22:23], s[30:31]
	v_fma_f64 v[120:121], s[0:1], v[34:35], v[20:21]
	v_fma_f64 v[20:21], v[34:35], s[0:1], -v[20:21]
	v_add_f64 v[66:67], v[66:67], v[118:119]
	v_fma_f64 v[118:119], v[32:33], s[0:1], -v[22:23]
	v_fmac_f64_e32 v[22:23], s[0:1], v[32:33]
	v_add_f64 v[20:21], v[20:21], v[26:27]
	v_add_f64 v[26:27], v[14:15], v[18:19]
	v_add_f64 v[14:15], v[14:15], -v[18:19]
	v_add_f64 v[22:23], v[22:23], v[24:25]
	v_add_f64 v[24:25], v[12:13], v[16:17]
	v_add_f64 v[12:13], v[12:13], -v[16:17]
	v_mul_f64 v[16:17], v[14:15], s[22:23]
	v_fma_f64 v[18:19], v[24:25], s[14:15], -v[16:17]
	v_add_f64 v[18:19], v[18:19], v[30:31]
	v_mul_f64 v[30:31], v[12:13], s[22:23]
	v_fmac_f64_e32 v[16:17], s[14:15], v[24:25]
	v_fma_f64 v[32:33], s[14:15], v[26:27], v[30:31]
	v_add_f64 v[16:17], v[16:17], v[28:29]
	v_fma_f64 v[28:29], v[26:27], s[14:15], -v[30:31]
	v_mul_f64 v[30:31], v[14:15], s[40:41]
	v_add_f64 v[62:63], v[62:63], v[116:117]
	v_fma_f64 v[116:117], s[14:15], v[34:35], v[114:115]
	v_fma_f64 v[114:115], v[34:35], s[14:15], -v[114:115]
	v_fma_f64 v[34:35], v[24:25], s[20:21], -v[30:31]
	v_fmac_f64_e32 v[30:31], s[20:21], v[24:25]
	s_mov_b32 s37, 0x3fed1bb4
	s_mov_b32 s36, s34
	v_add_f64 v[28:29], v[28:29], v[36:37]
	v_mul_f64 v[36:37], v[12:13], s[40:41]
	v_add_f64 v[30:31], v[30:31], v[38:39]
	v_mul_f64 v[38:39], v[14:15], s[36:37]
	v_add_f64 v[32:33], v[32:33], v[40:41]
	v_add_f64 v[34:35], v[34:35], v[42:43]
	v_fma_f64 v[40:41], s[20:21], v[26:27], v[36:37]
	v_fma_f64 v[36:37], v[26:27], s[20:21], -v[36:37]
	v_fma_f64 v[42:43], v[24:25], s[4:5], -v[38:39]
	v_fmac_f64_e32 v[38:39], s[4:5], v[24:25]
	v_add_f64 v[36:37], v[36:37], v[52:53]
	v_mul_f64 v[52:53], v[12:13], s[36:37]
	v_add_f64 v[38:39], v[38:39], v[56:57]
	v_mul_f64 v[56:57], v[14:15], s[24:25]
	v_add_f64 v[40:41], v[40:41], v[54:55]
	v_add_f64 v[42:43], v[42:43], v[58:59]
	v_fma_f64 v[54:55], s[4:5], v[26:27], v[52:53]
	v_fma_f64 v[52:53], v[26:27], s[4:5], -v[52:53]
	v_fma_f64 v[58:59], v[24:25], s[0:1], -v[56:57]
	v_fmac_f64_e32 v[56:57], s[0:1], v[24:25]
	v_mul_f64 v[14:15], v[14:15], s[26:27]
	v_add_f64 v[52:53], v[52:53], v[60:61]
	v_mul_f64 v[60:61], v[12:13], s[24:25]
	v_add_f64 v[56:57], v[56:57], v[66:67]
	v_fma_f64 v[66:67], v[24:25], s[18:19], -v[14:15]
	v_mul_f64 v[12:13], v[12:13], s[26:27]
	v_fmac_f64_e32 v[14:15], s[18:19], v[24:25]
	v_add_f64 v[58:59], v[58:59], v[112:113]
	v_fma_f64 v[112:113], s[18:19], v[26:27], v[12:13]
	v_add_f64 v[14:15], v[14:15], v[22:23]
	v_fma_f64 v[12:13], v[26:27], s[18:19], -v[12:13]
	v_add_f64 v[22:23], v[50:51], v[10:11]
	v_add_f64 v[10:11], v[50:51], -v[10:11]
	v_add_f64 v[12:13], v[12:13], v[20:21]
	v_add_f64 v[20:21], v[48:49], v[8:9]
	v_mul_f64 v[24:25], v[10:11], s[26:27]
	v_add_f64 v[54:55], v[54:55], v[62:63]
	v_fma_f64 v[62:63], s[0:1], v[26:27], v[60:61]
	v_fma_f64 v[60:61], v[26:27], s[0:1], -v[60:61]
	v_add_f64 v[8:9], v[48:49], -v[8:9]
	v_fma_f64 v[26:27], v[20:21], s[18:19], -v[24:25]
	v_add_f64 v[18:19], v[26:27], v[18:19]
	v_mul_f64 v[26:27], v[8:9], s[26:27]
	v_fmac_f64_e32 v[24:25], s[18:19], v[20:21]
	v_add_f64 v[24:25], v[24:25], v[16:17]
	v_fma_f64 v[16:17], v[22:23], s[18:19], -v[26:27]
	v_fma_f64 v[48:49], s[18:19], v[22:23], v[26:27]
	v_add_f64 v[26:27], v[16:17], v[28:29]
	v_mul_f64 v[16:17], v[10:11], s[38:39]
	v_fma_f64 v[28:29], v[20:21], s[14:15], -v[16:17]
	v_add_f64 v[28:29], v[28:29], v[34:35]
	v_mul_f64 v[34:35], v[8:9], s[38:39]
	v_fmac_f64_e32 v[16:17], s[14:15], v[20:21]
	v_add_f64 v[30:31], v[16:17], v[30:31]
	v_fma_f64 v[16:17], v[22:23], s[14:15], -v[34:35]
	v_add_f64 v[32:33], v[48:49], v[32:33]
	v_fma_f64 v[48:49], s[14:15], v[22:23], v[34:35]
	v_add_f64 v[34:35], v[16:17], v[36:37]
	v_mul_f64 v[16:17], v[10:11], s[24:25]
	v_fma_f64 v[36:37], v[20:21], s[0:1], -v[16:17]
	v_add_f64 v[36:37], v[36:37], v[42:43]
	v_mul_f64 v[42:43], v[8:9], s[24:25]
	v_fmac_f64_e32 v[16:17], s[0:1], v[20:21]
	v_add_f64 v[38:39], v[16:17], v[38:39]
	v_fma_f64 v[16:17], v[22:23], s[0:1], -v[42:43]
	v_add_f64 v[40:41], v[48:49], v[40:41]
	v_fma_f64 v[48:49], s[0:1], v[22:23], v[42:43]
	v_add_f64 v[42:43], v[16:17], v[52:53]
	v_mul_f64 v[16:17], v[10:11], s[28:29]
	v_add_f64 v[114:115], v[114:115], v[122:123]
	v_fma_f64 v[50:51], v[20:21], s[20:21], -v[16:17]
	v_mul_f64 v[52:53], v[8:9], s[28:29]
	v_fmac_f64_e32 v[16:17], s[20:21], v[20:21]
	v_add_f64 v[118:119], v[118:119], v[126:127]
	v_add_f64 v[60:61], v[60:61], v[114:115]
	;; [unrolled: 1-line block ×3, first 2 shown]
	v_fma_f64 v[16:17], v[22:23], s[20:21], -v[52:53]
	v_mul_f64 v[10:11], v[10:11], s[36:37]
	v_add_f64 v[120:121], v[120:121], v[128:129]
	v_add_f64 v[66:67], v[66:67], v[118:119]
	;; [unrolled: 1-line block ×3, first 2 shown]
	v_fma_f64 v[54:55], s[20:21], v[22:23], v[52:53]
	v_add_f64 v[52:53], v[16:17], v[60:61]
	v_fma_f64 v[16:17], v[20:21], s[4:5], -v[10:11]
	v_mul_f64 v[8:9], v[8:9], s[36:37]
	v_add_f64 v[116:117], v[116:117], v[124:125]
	v_add_f64 v[112:113], v[112:113], v[120:121]
	;; [unrolled: 1-line block ×4, first 2 shown]
	v_fma_f64 v[16:17], s[4:5], v[22:23], v[8:9]
	v_fma_f64 v[8:9], v[22:23], s[4:5], -v[8:9]
	v_add_f64 v[114:115], v[2:3], v[46:47]
	v_add_f64 v[2:3], v[2:3], -v[46:47]
	v_add_f64 v[62:63], v[62:63], v[116:117]
	v_add_f64 v[60:61], v[16:17], v[112:113]
	v_fmac_f64_e32 v[10:11], s[4:5], v[20:21]
	v_add_f64 v[66:67], v[8:9], v[12:13]
	v_add_f64 v[112:113], v[0:1], v[44:45]
	v_mul_f64 v[8:9], v[2:3], s[28:29]
	v_add_f64 v[54:55], v[54:55], v[62:63]
	v_add_f64 v[62:63], v[10:11], v[14:15]
	v_add_f64 v[0:1], v[0:1], -v[44:45]
	v_fma_f64 v[10:11], v[112:113], s[20:21], -v[8:9]
	v_add_f64 v[16:17], v[10:11], v[18:19]
	v_mul_f64 v[10:11], v[0:1], s[28:29]
	v_fma_f64 v[12:13], s[20:21], v[114:115], v[10:11]
	v_add_f64 v[18:19], v[12:13], v[32:33]
	v_mul_f64 v[12:13], v[2:3], s[30:31]
	v_fmac_f64_e32 v[8:9], s[20:21], v[112:113]
	v_fma_f64 v[14:15], v[112:113], s[0:1], -v[12:13]
	v_add_f64 v[8:9], v[8:9], v[24:25]
	v_add_f64 v[24:25], v[14:15], v[28:29]
	v_mul_f64 v[14:15], v[0:1], s[30:31]
	v_fma_f64 v[10:11], v[114:115], s[20:21], -v[10:11]
	v_fma_f64 v[20:21], s[0:1], v[114:115], v[14:15]
	v_add_f64 v[10:11], v[10:11], v[26:27]
	v_add_f64 v[26:27], v[20:21], v[40:41]
	v_mul_f64 v[20:21], v[2:3], s[26:27]
	v_fma_f64 v[14:15], v[114:115], s[0:1], -v[14:15]
	v_fma_f64 v[22:23], v[112:113], s[18:19], -v[20:21]
	v_mul_f64 v[32:33], v[2:3], s[36:37]
	v_fmac_f64_e32 v[12:13], s[0:1], v[112:113]
	v_add_f64 v[14:15], v[14:15], v[34:35]
	v_add_f64 v[28:29], v[22:23], v[36:37]
	v_mul_f64 v[22:23], v[0:1], s[26:27]
	v_fma_f64 v[34:35], v[112:113], s[4:5], -v[32:33]
	v_mul_f64 v[2:3], v[2:3], s[22:23]
	v_add_f64 v[12:13], v[12:13], v[30:31]
	v_fma_f64 v[30:31], s[18:19], v[114:115], v[22:23]
	v_fma_f64 v[22:23], v[114:115], s[18:19], -v[22:23]
	v_add_f64 v[36:37], v[34:35], v[50:51]
	v_mul_f64 v[34:35], v[0:1], s[36:37]
	v_fma_f64 v[40:41], v[112:113], s[14:15], -v[2:3]
	v_mul_f64 v[0:1], v[0:1], s[22:23]
	v_fmac_f64_e32 v[2:3], s[14:15], v[112:113]
	v_fmac_f64_e32 v[20:21], s[18:19], v[112:113]
	v_add_f64 v[22:23], v[22:23], v[42:43]
	v_fma_f64 v[42:43], s[14:15], v[114:115], v[0:1]
	v_add_f64 v[116:117], v[2:3], v[62:63]
	v_fma_f64 v[0:1], v[114:115], s[14:15], -v[0:1]
	v_add_f64 v[2:3], v[74:75], -v[110:111]
	v_add_f64 v[20:21], v[20:21], v[38:39]
	v_fma_f64 v[38:39], s[4:5], v[114:115], v[34:35]
	v_fma_f64 v[34:35], v[114:115], s[4:5], -v[34:35]
	v_add_f64 v[118:119], v[0:1], v[66:67]
	v_add_f64 v[124:125], v[72:73], v[108:109]
	v_add_f64 v[0:1], v[72:73], -v[108:109]
	v_mul_f64 v[66:67], v[2:3], s[34:35]
	v_add_f64 v[34:35], v[34:35], v[52:53]
	v_add_f64 v[126:127], v[74:75], v[110:111]
	v_mul_f64 v[120:121], v[0:1], s[34:35]
	v_fma_f64 v[52:53], s[4:5], v[124:125], v[66:67]
	v_add_f64 v[42:43], v[42:43], v[60:61]
	v_add_f64 v[60:61], v[68:69], v[52:53]
	v_fma_f64 v[52:53], v[126:127], s[4:5], -v[120:121]
	v_add_f64 v[62:63], v[70:71], v[52:53]
	v_mul_f64 v[52:53], v[2:3], s[22:23]
	v_add_f64 v[38:39], v[38:39], v[54:55]
	v_fma_f64 v[54:55], v[124:125], s[14:15], -v[52:53]
	v_fmac_f64_e32 v[32:33], s[4:5], v[112:113]
	v_add_f64 v[112:113], v[68:69], v[54:55]
	v_mul_f64 v[54:55], v[0:1], s[22:23]
	v_fmac_f64_e32 v[52:53], s[14:15], v[124:125]
	v_add_f64 v[130:131], v[68:69], v[52:53]
	v_fma_f64 v[52:53], v[126:127], s[14:15], -v[54:55]
	v_add_f64 v[132:133], v[70:71], v[52:53]
	v_mul_f64 v[52:53], v[2:3], s[26:27]
	v_add_f64 v[32:33], v[32:33], v[56:57]
	v_fma_f64 v[56:57], s[14:15], v[126:127], v[54:55]
	v_fma_f64 v[54:55], v[124:125], s[18:19], -v[52:53]
	v_add_f64 v[134:135], v[68:69], v[54:55]
	v_mul_f64 v[54:55], v[0:1], s[26:27]
	v_fmac_f64_e32 v[52:53], s[18:19], v[124:125]
	v_add_f64 v[30:31], v[30:31], v[48:49]
	v_mul_f64 v[48:49], v[2:3], s[24:25]
	v_add_f64 v[138:139], v[68:69], v[52:53]
	v_fma_f64 v[52:53], v[126:127], s[18:19], -v[54:55]
	v_mul_f64 v[2:3], v[2:3], s[28:29]
	v_mul_f64 v[50:51], v[0:1], s[24:25]
	v_add_f64 v[114:115], v[70:71], v[56:57]
	v_fma_f64 v[56:57], s[18:19], v[126:127], v[54:55]
	v_add_f64 v[140:141], v[70:71], v[52:53]
	v_fma_f64 v[52:53], v[124:125], s[20:21], -v[2:3]
	v_mul_f64 v[0:1], v[0:1], s[28:29]
	v_add_f64 v[148:149], v[78:79], -v[106:107]
	v_fma_f64 v[44:45], s[0:1], v[124:125], v[48:49]
	v_add_f64 v[136:137], v[70:71], v[56:57]
	v_add_f64 v[142:143], v[68:69], v[52:53]
	v_fma_f64 v[52:53], s[20:21], v[126:127], v[0:1]
	v_add_f64 v[56:57], v[76:77], v[104:105]
	v_add_f64 v[146:147], v[76:77], -v[104:105]
	v_mul_f64 v[122:123], v[148:149], s[34:35]
	v_add_f64 v[40:41], v[40:41], v[58:59]
	v_add_f64 v[44:45], v[68:69], v[44:45]
	v_fma_f64 v[46:47], v[126:127], s[0:1], -v[50:51]
	v_add_f64 v[144:145], v[70:71], v[52:53]
	v_add_f64 v[58:59], v[78:79], v[106:107]
	v_mul_f64 v[128:129], v[146:147], s[34:35]
	v_fma_f64 v[52:53], s[4:5], v[56:57], v[122:123]
	v_add_f64 v[46:47], v[70:71], v[46:47]
	v_add_f64 v[44:45], v[52:53], v[44:45]
	v_fma_f64 v[52:53], v[58:59], s[4:5], -v[128:129]
	v_add_f64 v[150:151], v[52:53], v[46:47]
	v_mul_f64 v[52:53], v[148:149], s[26:27]
	v_mul_f64 v[54:55], v[146:147], s[26:27]
	v_fma_f64 v[46:47], s[18:19], v[56:57], v[52:53]
	v_add_f64 v[152:153], v[46:47], v[60:61]
	v_fma_f64 v[46:47], v[58:59], s[18:19], -v[54:55]
	v_add_f64 v[154:155], v[46:47], v[62:63]
	v_mul_f64 v[46:47], v[148:149], s[40:41]
	v_fma_f64 v[60:61], v[56:57], s[20:21], -v[46:47]
	v_add_f64 v[112:113], v[60:61], v[112:113]
	v_mul_f64 v[60:61], v[146:147], s[40:41]
	v_fmac_f64_e32 v[46:47], s[20:21], v[56:57]
	v_add_f64 v[156:157], v[46:47], v[130:131]
	v_fma_f64 v[46:47], v[58:59], s[20:21], -v[60:61]
	v_add_f64 v[160:161], v[46:47], v[132:133]
	v_mul_f64 v[46:47], v[148:149], s[38:39]
	v_fma_f64 v[62:63], s[20:21], v[58:59], v[60:61]
	v_fma_f64 v[60:61], v[56:57], s[14:15], -v[46:47]
	v_add_f64 v[134:135], v[60:61], v[134:135]
	v_mul_f64 v[60:61], v[146:147], s[38:39]
	v_fmac_f64_e32 v[46:47], s[14:15], v[56:57]
	v_add_f64 v[138:139], v[46:47], v[138:139]
	v_fma_f64 v[46:47], v[58:59], s[14:15], -v[60:61]
	v_add_f64 v[140:141], v[46:47], v[140:141]
	v_mul_f64 v[46:47], v[148:149], s[30:31]
	v_fmac_f64_e32 v[2:3], s[20:21], v[124:125]
	v_add_f64 v[114:115], v[62:63], v[114:115]
	v_fma_f64 v[62:63], s[14:15], v[58:59], v[60:61]
	v_fma_f64 v[60:61], v[56:57], s[0:1], -v[46:47]
	v_add_f64 v[2:3], v[68:69], v[2:3]
	v_fma_f64 v[0:1], v[126:127], s[20:21], -v[0:1]
	v_add_f64 v[142:143], v[60:61], v[142:143]
	v_mul_f64 v[60:61], v[146:147], s[30:31]
	v_fmac_f64_e32 v[46:47], s[0:1], v[56:57]
	v_add_f64 v[0:1], v[70:71], v[0:1]
	v_add_f64 v[2:3], v[46:47], v[2:3]
	v_fma_f64 v[46:47], v[58:59], s[0:1], -v[60:61]
	v_add_f64 v[148:149], v[82:83], -v[102:103]
	v_add_f64 v[136:137], v[62:63], v[136:137]
	v_fma_f64 v[62:63], s[0:1], v[58:59], v[60:61]
	v_add_f64 v[0:1], v[46:47], v[0:1]
	v_add_f64 v[46:47], v[80:81], v[100:101]
	v_add_f64 v[146:147], v[80:81], -v[100:101]
	v_mul_f64 v[60:61], v[148:149], s[22:23]
	v_add_f64 v[144:145], v[62:63], v[144:145]
	v_add_f64 v[132:133], v[82:83], v[102:103]
	v_mul_f64 v[62:63], v[146:147], s[22:23]
	v_fma_f64 v[130:131], s[14:15], v[46:47], v[60:61]
	v_add_f64 v[162:163], v[130:131], v[44:45]
	v_fma_f64 v[44:45], v[132:133], s[14:15], -v[62:63]
	v_mul_f64 v[130:131], v[148:149], s[40:41]
	v_add_f64 v[150:151], v[44:45], v[150:151]
	v_mul_f64 v[44:45], v[146:147], s[40:41]
	v_fma_f64 v[164:165], s[20:21], v[46:47], v[130:131]
	v_add_f64 v[152:153], v[164:165], v[152:153]
	v_fma_f64 v[164:165], v[132:133], s[20:21], -v[44:45]
	v_add_f64 v[154:155], v[164:165], v[154:155]
	v_mul_f64 v[164:165], v[148:149], s[36:37]
	v_fma_f64 v[166:167], v[46:47], s[4:5], -v[164:165]
	v_add_f64 v[112:113], v[166:167], v[112:113]
	v_mul_f64 v[166:167], v[146:147], s[36:37]
	v_fmac_f64_e32 v[164:165], s[4:5], v[46:47]
	v_add_f64 v[156:157], v[164:165], v[156:157]
	v_fma_f64 v[164:165], v[132:133], s[4:5], -v[166:167]
	v_add_f64 v[160:161], v[164:165], v[160:161]
	v_mul_f64 v[164:165], v[148:149], s[24:25]
	v_fma_f64 v[168:169], s[4:5], v[132:133], v[166:167]
	v_fma_f64 v[166:167], v[46:47], s[0:1], -v[164:165]
	v_add_f64 v[166:167], v[166:167], v[134:135]
	v_mul_f64 v[134:135], v[146:147], s[24:25]
	v_add_f64 v[114:115], v[168:169], v[114:115]
	v_fma_f64 v[168:169], s[0:1], v[132:133], v[134:135]
	v_fma_f64 v[134:135], v[132:133], s[0:1], -v[134:135]
	v_add_f64 v[170:171], v[134:135], v[140:141]
	v_mul_f64 v[134:135], v[148:149], s[26:27]
	v_add_f64 v[168:169], v[168:169], v[136:137]
	v_fma_f64 v[136:137], v[46:47], s[18:19], -v[134:135]
	v_add_f64 v[148:149], v[136:137], v[142:143]
	v_mul_f64 v[136:137], v[146:147], s[26:27]
	v_fmac_f64_e32 v[134:135], s[18:19], v[46:47]
	v_fmac_f64_e32 v[164:165], s[0:1], v[46:47]
	v_add_f64 v[2:3], v[134:135], v[2:3]
	v_fma_f64 v[134:135], v[132:133], s[18:19], -v[136:137]
	v_add_f64 v[174:175], v[86:87], -v[98:99]
	v_add_f64 v[164:165], v[164:165], v[138:139]
	v_fma_f64 v[138:139], s[18:19], v[132:133], v[136:137]
	v_add_f64 v[0:1], v[134:135], v[0:1]
	v_add_f64 v[140:141], v[84:85], v[96:97]
	v_add_f64 v[172:173], v[84:85], -v[96:97]
	v_mul_f64 v[134:135], v[174:175], s[26:27]
	v_add_f64 v[146:147], v[138:139], v[144:145]
	v_add_f64 v[142:143], v[86:87], v[98:99]
	v_mul_f64 v[136:137], v[172:173], s[26:27]
	v_fma_f64 v[138:139], s[18:19], v[140:141], v[134:135]
	v_add_f64 v[162:163], v[138:139], v[162:163]
	v_fma_f64 v[138:139], v[142:143], s[18:19], -v[136:137]
	v_add_f64 v[150:151], v[138:139], v[150:151]
	v_mul_f64 v[138:139], v[174:175], s[38:39]
	v_mul_f64 v[144:145], v[172:173], s[38:39]
	v_fma_f64 v[176:177], s[14:15], v[140:141], v[138:139]
	v_add_f64 v[176:177], v[176:177], v[152:153]
	v_fma_f64 v[152:153], v[142:143], s[14:15], -v[144:145]
	v_add_f64 v[178:179], v[152:153], v[154:155]
	v_mul_f64 v[152:153], v[174:175], s[24:25]
	v_fma_f64 v[154:155], v[140:141], s[0:1], -v[152:153]
	v_add_f64 v[112:113], v[154:155], v[112:113]
	v_mul_f64 v[154:155], v[172:173], s[24:25]
	v_fma_f64 v[180:181], s[0:1], v[142:143], v[154:155]
	v_fmac_f64_e32 v[152:153], s[0:1], v[140:141]
	v_add_f64 v[114:115], v[180:181], v[114:115]
	v_add_f64 v[180:181], v[152:153], v[156:157]
	v_fma_f64 v[152:153], v[142:143], s[0:1], -v[154:155]
	v_add_f64 v[160:161], v[152:153], v[160:161]
	v_mul_f64 v[152:153], v[174:175], s[28:29]
	v_fma_f64 v[154:155], v[140:141], s[20:21], -v[152:153]
	v_add_f64 v[166:167], v[154:155], v[166:167]
	v_mul_f64 v[154:155], v[172:173], s[28:29]
	v_fmac_f64_e32 v[152:153], s[20:21], v[140:141]
	v_add_f64 v[164:165], v[152:153], v[164:165]
	v_fma_f64 v[152:153], v[142:143], s[20:21], -v[154:155]
	v_add_f64 v[170:171], v[152:153], v[170:171]
	v_mul_f64 v[152:153], v[174:175], s[36:37]
	v_fma_f64 v[156:157], s[20:21], v[142:143], v[154:155]
	v_fma_f64 v[154:155], v[140:141], s[4:5], -v[152:153]
	v_add_f64 v[174:175], v[154:155], v[148:149]
	v_mul_f64 v[148:149], v[172:173], s[36:37]
	v_fma_f64 v[154:155], s[4:5], v[142:143], v[148:149]
	v_fmac_f64_e32 v[152:153], s[4:5], v[140:141]
	v_add_f64 v[188:189], v[90:91], -v[94:95]
	v_add_f64 v[172:173], v[154:155], v[146:147]
	v_add_f64 v[182:183], v[152:153], v[2:3]
	v_fma_f64 v[2:3], v[142:143], s[4:5], -v[148:149]
	v_add_f64 v[152:153], v[88:89], v[92:93]
	v_add_f64 v[186:187], v[88:89], -v[92:93]
	v_mul_f64 v[146:147], v[188:189], s[28:29]
	v_add_f64 v[184:185], v[2:3], v[0:1]
	v_add_f64 v[154:155], v[90:91], v[94:95]
	v_mul_f64 v[148:149], v[186:187], s[28:29]
	v_fma_f64 v[0:1], s[20:21], v[152:153], v[146:147]
	v_add_f64 v[198:199], v[0:1], v[162:163]
	v_fma_f64 v[0:1], v[154:155], s[20:21], -v[148:149]
	v_add_f64 v[200:201], v[0:1], v[150:151]
	v_mul_f64 v[150:151], v[188:189], s[30:31]
	v_add_f64 v[168:169], v[156:157], v[168:169]
	v_mul_f64 v[156:157], v[186:187], s[30:31]
	v_fma_f64 v[0:1], s[0:1], v[152:153], v[150:151]
	v_add_f64 v[176:177], v[0:1], v[176:177]
	v_fma_f64 v[0:1], v[154:155], s[0:1], -v[156:157]
	v_mul_f64 v[162:163], v[188:189], s[26:27]
	v_add_f64 v[178:179], v[0:1], v[178:179]
	v_fma_f64 v[0:1], v[152:153], s[18:19], -v[162:163]
	v_add_f64 v[0:1], v[0:1], v[112:113]
	v_mul_f64 v[112:113], v[186:187], s[26:27]
	v_fma_f64 v[2:3], s[18:19], v[154:155], v[112:113]
	v_fma_f64 v[112:113], v[154:155], s[18:19], -v[112:113]
	v_fmac_f64_e32 v[162:163], s[18:19], v[152:153]
	v_add_f64 v[192:193], v[112:113], v[160:161]
	v_mul_f64 v[160:161], v[188:189], s[36:37]
	v_add_f64 v[190:191], v[162:163], v[180:181]
	v_fma_f64 v[112:113], v[152:153], s[4:5], -v[160:161]
	v_mul_f64 v[162:163], v[186:187], s[36:37]
	v_fmac_f64_e32 v[160:161], s[4:5], v[152:153]
	v_add_f64 v[194:195], v[160:161], v[164:165]
	v_fma_f64 v[160:161], v[154:155], s[4:5], -v[162:163]
	v_add_f64 v[196:197], v[160:161], v[170:171]
	v_mul_f64 v[160:161], v[188:189], s[22:23]
	v_add_f64 v[2:3], v[2:3], v[114:115]
	v_fma_f64 v[114:115], s[4:5], v[154:155], v[162:163]
	v_fma_f64 v[162:163], v[152:153], s[14:15], -v[160:161]
	v_add_f64 v[112:113], v[112:113], v[166:167]
	v_add_f64 v[166:167], v[162:163], v[174:175]
	v_mul_f64 v[162:163], v[186:187], s[22:23]
	v_fma_f64 v[164:165], s[14:15], v[154:155], v[162:163]
	v_add_f64 v[114:115], v[114:115], v[168:169]
	v_add_f64 v[168:169], v[164:165], v[172:173]
	v_pk_mov_b32 v[164:165], v[166:167], v[166:167] op_sel:[0,1]
	v_fmac_f64_e32 v[160:161], s[14:15], v[152:153]
	v_pk_mov_b32 v[166:167], v[168:169], v[168:169] op_sel:[0,1]
	v_pk_mov_b32 v[168:169], v[176:177], v[176:177] op_sel:[0,1]
	v_add_f64 v[180:181], v[160:161], v[182:183]
	v_fma_f64 v[160:161], v[154:155], s[14:15], -v[162:163]
	v_pk_mov_b32 v[172:173], v[190:191], v[190:191] op_sel:[0,1]
	v_pk_mov_b32 v[170:171], v[178:179], v[178:179] op_sel:[0,1]
	;; [unrolled: 1-line block ×3, first 2 shown]
	v_add_f64 v[182:183], v[160:161], v[184:185]
	v_pk_mov_b32 v[184:185], v[198:199], v[198:199] op_sel:[0,1]
	v_mul_lo_u16_e32 v159, 11, v214
	v_pk_mov_b32 v[174:175], v[192:193], v[192:193] op_sel:[0,1]
	v_pk_mov_b32 v[178:179], v[196:197], v[196:197] op_sel:[0,1]
	;; [unrolled: 1-line block ×3, first 2 shown]
	v_lshlrev_b32_e32 v159, 4, v159
	v_mul_u32_u24_e32 v160, 11, v208
	s_barrier
	ds_write_b128 v159, v[4:7]
	ds_write_b128 v159, v[16:19] offset:16
	ds_write_b128 v159, v[24:27] offset:32
	;; [unrolled: 1-line block ×10, first 2 shown]
	s_and_saveexec_b64 s[22:23], vcc
	s_cbranch_execz .LBB0_7
; %bb.6:
	v_mul_f64 v[8:9], v[124:125], s[0:1]
	v_mul_f64 v[12:13], v[56:57], s[4:5]
	v_add_f64 v[8:9], v[8:9], -v[48:49]
	v_mul_f64 v[4:5], v[124:125], s[4:5]
	v_mul_f64 v[6:7], v[126:127], s[4:5]
	v_add_f64 v[12:13], v[12:13], -v[122:123]
	v_add_f64 v[8:9], v[68:69], v[8:9]
	v_mul_f64 v[16:17], v[56:57], s[18:19]
	v_mul_f64 v[18:19], v[58:59], s[18:19]
	v_add_f64 v[6:7], v[120:121], v[6:7]
	v_add_f64 v[4:5], v[4:5], -v[66:67]
	v_add_f64 v[8:9], v[12:13], v[8:9]
	v_add_f64 v[12:13], v[70:71], v[74:75]
	v_mul_f64 v[10:11], v[126:127], s[0:1]
	v_mul_f64 v[24:25], v[46:47], s[20:21]
	;; [unrolled: 1-line block ×3, first 2 shown]
	v_add_f64 v[18:19], v[54:55], v[18:19]
	v_add_f64 v[6:7], v[70:71], v[6:7]
	v_add_f64 v[16:17], v[16:17], -v[52:53]
	v_add_f64 v[4:5], v[68:69], v[4:5]
	v_add_f64 v[12:13], v[12:13], v[78:79]
	v_mul_f64 v[14:15], v[58:59], s[4:5]
	v_mul_f64 v[32:33], v[140:141], s[14:15]
	v_add_f64 v[26:27], v[44:45], v[26:27]
	v_add_f64 v[6:7], v[18:19], v[6:7]
	v_add_f64 v[24:25], v[24:25], -v[130:131]
	v_add_f64 v[4:5], v[16:17], v[4:5]
	v_add_f64 v[10:11], v[50:51], v[10:11]
	;; [unrolled: 1-line block ×3, first 2 shown]
	v_mul_f64 v[22:23], v[132:133], s[14:15]
	v_mul_f64 v[40:41], v[152:153], s[0:1]
	v_add_f64 v[6:7], v[26:27], v[6:7]
	v_add_f64 v[26:27], v[32:33], -v[138:139]
	v_add_f64 v[4:5], v[24:25], v[4:5]
	v_add_f64 v[14:15], v[128:129], v[14:15]
	;; [unrolled: 1-line block ×4, first 2 shown]
	v_mul_f64 v[30:31], v[142:143], s[18:19]
	v_add_f64 v[18:19], v[40:41], -v[150:151]
	v_add_f64 v[4:5], v[26:27], v[4:5]
	v_add_f64 v[22:23], v[62:63], v[22:23]
	;; [unrolled: 1-line block ×4, first 2 shown]
	v_mul_f64 v[20:21], v[46:47], s[14:15]
	v_mul_f64 v[38:39], v[154:155], s[20:21]
	v_add_f64 v[4:5], v[18:19], v[4:5]
	v_add_f64 v[18:19], v[136:137], v[30:31]
	;; [unrolled: 1-line block ×4, first 2 shown]
	v_mul_f64 v[28:29], v[140:141], s[18:19]
	v_add_f64 v[16:17], v[148:149], v[38:39]
	v_add_f64 v[10:11], v[18:19], v[10:11]
	v_add_f64 v[18:19], v[20:21], -v[60:61]
	v_add_f64 v[12:13], v[12:13], v[98:99]
	v_mul_f64 v[36:37], v[152:153], s[20:21]
	v_add_f64 v[10:11], v[16:17], v[10:11]
	v_add_f64 v[16:17], v[28:29], -v[134:135]
	v_add_f64 v[8:9], v[18:19], v[8:9]
	v_add_f64 v[12:13], v[12:13], v[102:103]
	v_add_f64 v[14:15], v[36:37], -v[146:147]
	v_add_f64 v[8:9], v[16:17], v[8:9]
	v_add_f64 v[12:13], v[12:13], v[106:107]
	;; [unrolled: 1-line block ×11, first 2 shown]
	v_mul_f64 v[34:35], v[142:143], s[14:15]
	v_add_f64 v[12:13], v[12:13], v[100:101]
	v_mul_f64 v[42:43], v[154:155], s[0:1]
	v_add_f64 v[34:35], v[144:145], v[34:35]
	v_add_f64 v[12:13], v[12:13], v[104:105]
	;; [unrolled: 1-line block ×5, first 2 shown]
	v_lshlrev_b32_e32 v16, 4, v160
	v_add_f64 v[6:7], v[42:43], v[6:7]
	ds_write_b128 v16, v[12:15]
	ds_write_b128 v16, v[8:11] offset:16
	ds_write_b128 v16, v[4:7] offset:32
	;; [unrolled: 1-line block ×10, first 2 shown]
.LBB0_7:
	s_or_b64 exec, exec, s[22:23]
	s_waitcnt lgkmcnt(0)
	s_barrier
	ds_read_b128 v[28:31], v158
	ds_read_b128 v[24:27], v158 offset:1760
	ds_read_b128 v[32:35], v158 offset:14960
	;; [unrolled: 1-line block ×13, first 2 shown]
	v_cmp_gt_u16_e64 s[0:1], 55, v214
	s_and_saveexec_b64 s[4:5], s[0:1]
	s_cbranch_execz .LBB0_9
; %bb.8:
	ds_read_b128 v[0:3], v158 offset:12320
	ds_read_b128 v[112:115], v158 offset:25520
.LBB0_9:
	s_or_b64 exec, exec, s[4:5]
	s_movk_i32 s4, 0xdc
	v_add_co_u32_e64 v40, s[4:5], s4, v214
	s_movk_i32 s22, 0x14a
	v_addc_co_u32_e64 v41, s[4:5], 0, 0, s[4:5]
	v_add_co_u32_e64 v47, s[4:5], s22, v214
	s_movk_i32 s4, 0x1b8
	v_add_co_u32_e64 v46, s[4:5], s4, v214
	s_movk_i32 s4, 0x226
	;; [unrolled: 2-line block ×4, first 2 shown]
	v_mul_lo_u16_sdwa v44, v214, s4 dst_sel:DWORD dst_unused:UNUSED_PAD src0_sel:BYTE_0 src1_sel:DWORD
	v_sub_u16_sdwa v45, v214, v44 dst_sel:DWORD dst_unused:UNUSED_PAD src0_sel:DWORD src1_sel:BYTE_1
	v_lshrrev_b16_e32 v45, 1, v45
	v_and_b32_e32 v45, 0x7f, v45
	v_add_u16_sdwa v44, v45, v44 dst_sel:DWORD dst_unused:UNUSED_PAD src0_sel:DWORD src1_sel:BYTE_1
	v_lshrrev_b16_e32 v44, 3, v44
	v_mul_lo_u16_e32 v45, 11, v44
	v_sub_u16_e32 v45, v214, v45
	v_and_b32_e32 v82, 0xff, v45
	v_mul_lo_u16_sdwa v45, v208, s4 dst_sel:DWORD dst_unused:UNUSED_PAD src0_sel:BYTE_0 src1_sel:DWORD
	v_sub_u16_sdwa v49, v208, v45 dst_sel:DWORD dst_unused:UNUSED_PAD src0_sel:DWORD src1_sel:BYTE_1
	v_lshrrev_b16_e32 v49, 1, v49
	v_and_b32_e32 v49, 0x7f, v49
	v_add_u16_sdwa v45, v49, v45 dst_sel:DWORD dst_unused:UNUSED_PAD src0_sel:DWORD src1_sel:BYTE_1
	v_lshrrev_b16_e32 v83, 3, v45
	v_mul_lo_u16_e32 v45, 11, v83
	v_sub_u16_e32 v45, v208, v45
	s_mov_b32 s4, 0xba2f
	v_and_b32_e32 v84, 0xff, v45
	v_mul_u32_u24_sdwa v45, v40, s4 dst_sel:DWORD dst_unused:UNUSED_PAD src0_sel:WORD_0 src1_sel:DWORD
	v_lshrrev_b32_e32 v85, 19, v45
	v_mul_u32_u24_sdwa v53, v47, s4 dst_sel:DWORD dst_unused:UNUSED_PAD src0_sel:WORD_0 src1_sel:DWORD
	v_mul_lo_u16_e32 v50, 11, v85
	v_lshrrev_b32_e32 v87, 19, v53
	v_sub_u16_e32 v86, v40, v50
	v_mul_lo_u16_e32 v51, 11, v87
	v_lshlrev_b32_e32 v49, 4, v84
	v_lshlrev_b32_e32 v50, 4, v86
	v_sub_u16_e32 v88, v47, v51
	v_lshlrev_b32_e32 v48, 4, v82
	v_lshlrev_b32_e32 v51, 4, v88
	global_load_dwordx4 v[58:61], v50, s[12:13]
	global_load_dwordx4 v[66:69], v51, s[12:13]
	;; [unrolled: 1-line block ×4, first 2 shown]
	v_mul_u32_u24_sdwa v52, v46, s4 dst_sel:DWORD dst_unused:UNUSED_PAD src0_sel:WORD_0 src1_sel:DWORD
	v_mul_u32_u24_sdwa v49, v42, s4 dst_sel:DWORD dst_unused:UNUSED_PAD src0_sel:WORD_0 src1_sel:DWORD
	v_lshrrev_b32_e32 v89, 19, v52
	v_lshrrev_b32_e32 v91, 19, v49
	v_mul_lo_u16_e32 v48, 11, v89
	v_mul_lo_u16_e32 v49, 11, v91
	v_sub_u16_e32 v90, v46, v48
	v_sub_u16_e32 v92, v42, v49
	v_lshlrev_b32_e32 v48, 4, v90
	v_lshlrev_b32_e32 v42, 4, v92
	global_load_dwordx4 v[96:99], v48, s[12:13]
	global_load_dwordx4 v[78:81], v42, s[12:13]
	v_mul_u32_u24_sdwa v42, v43, s4 dst_sel:DWORD dst_unused:UNUSED_PAD src0_sel:WORD_0 src1_sel:DWORD
	v_lshrrev_b32_e32 v93, 19, v42
	v_mul_lo_u16_e32 v42, 11, v93
	v_sub_u16_e32 v94, v43, v42
	v_add_u16_e32 v43, 0x302, v214
	v_mul_u32_u24_e32 v48, 0xba2f, v43
	v_lshlrev_b32_e32 v42, 4, v94
	v_lshrrev_b32_e32 v156, 19, v48
	global_load_dwordx4 v[124:127], v42, s[12:13]
	v_mul_lo_u16_e32 v42, 11, v156
	v_sub_u16_e32 v157, v43, v42
	v_lshlrev_b32_e32 v42, 4, v157
	global_load_dwordx4 v[188:191], v42, s[12:13]
	s_waitcnt lgkmcnt(0)
	s_barrier
	s_waitcnt vmcnt(7)
	v_accvgpr_write_b32 a56, v58
	v_mul_f64 v[42:43], v[118:119], v[60:61]
	v_mul_f64 v[50:51], v[116:117], v[60:61]
	v_accvgpr_write_b32 a57, v59
	v_accvgpr_write_b32 a58, v60
	;; [unrolled: 1-line block ×3, first 2 shown]
	s_waitcnt vmcnt(4)
	v_mul_f64 v[60:61], v[34:35], v[72:73]
	v_mul_f64 v[48:49], v[106:107], v[68:69]
	;; [unrolled: 1-line block ×4, first 2 shown]
	v_fma_f64 v[60:61], v[32:33], v[70:71], -v[60:61]
	v_accvgpr_write_b32 a52, v66
	v_fma_f64 v[54:55], v[104:105], v[66:67], -v[48:49]
	s_waitcnt vmcnt(3)
	v_mul_f64 v[32:33], v[102:103], v[98:99]
	v_accvgpr_write_b32 a60, v70
	v_accvgpr_write_b32 a53, v67
	;; [unrolled: 1-line block ×4, first 2 shown]
	v_fmac_f64_e32 v[56:57], v[106:107], v[66:67]
	v_fma_f64 v[66:67], v[100:101], v[96:97], -v[32:33]
	s_waitcnt vmcnt(2)
	v_mul_f64 v[32:33], v[110:111], v[80:81]
	v_fma_f64 v[42:43], v[116:117], v[58:59], -v[42:43]
	v_fmac_f64_e32 v[50:51], v[118:119], v[58:59]
	v_mul_f64 v[48:49], v[122:123], v[76:77]
	v_mul_f64 v[58:59], v[120:121], v[76:77]
	v_accvgpr_write_b32 a64, v74
	v_accvgpr_write_b32 a61, v71
	;; [unrolled: 1-line block ×4, first 2 shown]
	v_fmac_f64_e32 v[62:63], v[34:35], v[70:71]
	v_fma_f64 v[70:71], v[108:109], v[78:79], -v[32:33]
	s_waitcnt vmcnt(1)
	v_mul_f64 v[32:33], v[38:39], v[126:127]
	v_fma_f64 v[48:49], v[120:121], v[74:75], -v[48:49]
	v_accvgpr_write_b32 a65, v75
	v_accvgpr_write_b32 a66, v76
	;; [unrolled: 1-line block ×3, first 2 shown]
	v_fmac_f64_e32 v[58:59], v[122:123], v[74:75]
	v_mul_f64 v[72:73], v[108:109], v[80:81]
	v_accvgpr_write_b32 a68, v78
	v_fma_f64 v[74:75], v[36:37], v[124:125], -v[32:33]
	s_waitcnt vmcnt(0)
	v_mul_f64 v[32:33], v[114:115], v[190:191]
	v_mul_f64 v[68:69], v[100:101], v[98:99]
	v_accvgpr_write_b32 a69, v79
	v_accvgpr_write_b32 a70, v80
	;; [unrolled: 1-line block ×3, first 2 shown]
	v_fmac_f64_e32 v[72:73], v[110:111], v[78:79]
	v_fma_f64 v[78:79], v[112:113], v[188:189], -v[32:33]
	v_add_f64 v[32:33], v[28:29], -v[48:49]
	v_add_f64 v[34:35], v[30:31], -v[58:59]
	;; [unrolled: 1-line block ×3, first 2 shown]
	v_mul_u32_u24_e32 v42, 22, v44
	v_fmac_f64_e32 v[68:69], v[102:103], v[96:97]
	v_mul_f64 v[76:77], v[36:37], v[126:127]
	v_fma_f64 v[28:29], v[28:29], 2.0, -v[32:33]
	v_fma_f64 v[30:31], v[30:31], 2.0, -v[34:35]
	v_add_lshl_u32 v102, v42, v82, 4
	v_fmac_f64_e32 v[76:77], v[38:39], v[124:125]
	v_add_f64 v[36:37], v[24:25], -v[60:61]
	v_add_f64 v[38:39], v[26:27], -v[62:63]
	ds_write_b128 v102, v[28:31]
	ds_write_b128 v102, v[32:35] offset:176
	v_mul_u32_u24_e32 v28, 22, v83
	v_fma_f64 v[24:25], v[24:25], 2.0, -v[36:37]
	v_fma_f64 v[26:27], v[26:27], 2.0, -v[38:39]
	v_add_lshl_u32 v103, v28, v84, 4
	v_add_f64 v[50:51], v[22:23], -v[50:51]
	ds_write_b128 v103, v[24:27]
	ds_write_b128 v103, v[36:39] offset:176
	v_mad_legacy_u16 v24, v85, 22, v86
	v_fma_f64 v[20:21], v[20:21], 2.0, -v[48:49]
	v_fma_f64 v[22:23], v[22:23], 2.0, -v[50:51]
	v_lshlrev_b32_e32 v104, 4, v24
	v_add_f64 v[54:55], v[16:17], -v[54:55]
	v_add_f64 v[56:57], v[18:19], -v[56:57]
	ds_write_b128 v104, v[20:23]
	ds_write_b128 v104, v[48:51] offset:176
	v_mad_legacy_u16 v20, v87, 22, v88
	v_fma_f64 v[16:17], v[16:17], 2.0, -v[54:55]
	v_fma_f64 v[18:19], v[18:19], 2.0, -v[56:57]
	v_lshlrev_b32_e32 v105, 4, v20
	v_add_f64 v[58:59], v[12:13], -v[66:67]
	;; [unrolled: 8-line block ×3, first 2 shown]
	v_add_f64 v[68:69], v[10:11], -v[72:73]
	ds_write_b128 v161, v[12:15]
	ds_write_b128 v161, v[58:61] offset:176
	v_mad_legacy_u16 v12, v91, 22, v92
	v_mul_f64 v[80:81], v[112:113], v[190:191]
	v_fma_f64 v[8:9], v[8:9], 2.0, -v[66:67]
	v_fma_f64 v[10:11], v[10:11], 2.0, -v[68:69]
	v_lshlrev_b32_e32 v162, 4, v12
	v_accvgpr_write_b32 a72, v96
	v_accvgpr_write_b32 a76, v124
	v_fmac_f64_e32 v[80:81], v[114:115], v[188:189]
	v_add_f64 v[70:71], v[4:5], -v[74:75]
	v_add_f64 v[72:73], v[6:7], -v[76:77]
	ds_write_b128 v162, v[8:11]
	ds_write_b128 v162, v[66:69] offset:176
	v_mad_legacy_u16 v8, v93, 22, v94
	v_accvgpr_write_b32 a73, v97
	v_accvgpr_write_b32 a74, v98
	;; [unrolled: 1-line block ×6, first 2 shown]
	v_fma_f64 v[4:5], v[4:5], 2.0, -v[70:71]
	v_fma_f64 v[6:7], v[6:7], 2.0, -v[72:73]
	v_add_f64 v[152:153], v[0:1], -v[78:79]
	v_add_f64 v[154:155], v[2:3], -v[80:81]
	v_lshlrev_b32_e32 v163, 4, v8
	ds_write_b128 v163, v[4:7]
	ds_write_b128 v163, v[70:73] offset:176
	s_and_saveexec_b64 s[4:5], s[0:1]
	s_cbranch_execz .LBB0_11
; %bb.10:
	v_mad_legacy_u16 v4, v156, 22, v157
	v_fma_f64 v[2:3], v[2:3], 2.0, -v[154:155]
	v_fma_f64 v[0:1], v[0:1], 2.0, -v[152:153]
	v_lshlrev_b32_e32 v4, 4, v4
	ds_write_b128 v4, v[0:3]
	ds_write_b128 v4, v[152:155] offset:176
.LBB0_11:
	s_or_b64 exec, exec, s[4:5]
	v_lshrrev_b16_e32 v32, 1, v214
	v_and_b32_e32 v32, 0x7f, v32
	v_mul_lo_u16_e32 v32, 0xbb, v32
	v_lshrrev_b16_e32 v54, 11, v32
	v_mul_lo_u16_e32 v32, 22, v54
	v_sub_u16_e32 v32, v214, v32
	v_and_b32_e32 v55, 0xff, v32
	v_mov_b32_e32 v0, s17
	v_lshlrev_b32_e32 v32, 5, v55
	v_addc_co_u32_e64 v44, s[2:3], 0, v0, s[2:3]
	s_waitcnt lgkmcnt(0)
	s_barrier
	ds_read_b128 v[148:151], v158
	ds_read_b128 v[36:39], v158 offset:8800
	ds_read_b128 v[56:59], v158 offset:17600
	;; [unrolled: 1-line block ×14, first 2 shown]
	global_load_dwordx4 v[72:75], v32, s[12:13] offset:192
	global_load_dwordx4 v[48:51], v32, s[12:13] offset:176
	v_lshrrev_b32_e32 v80, 20, v52
	s_mov_b32 s5, 0xbfebb67a
	s_mov_b32 s14, 0x134454ff
	;; [unrolled: 1-line block ×8, first 2 shown]
	v_accvgpr_write_b32 a0, v214
	s_waitcnt vmcnt(1) lgkmcnt(12)
	v_mul_f64 v[66:67], v[56:57], v[74:75]
	s_waitcnt vmcnt(0)
	v_mul_f64 v[32:33], v[38:39], v[50:51]
	v_fma_f64 v[34:35], v[36:37], v[48:49], -v[32:33]
	v_mul_f64 v[42:43], v[36:37], v[50:51]
	v_accvgpr_write_b32 a95, v51
	v_mul_f64 v[32:33], v[58:59], v[74:75]
	v_accvgpr_write_b32 a94, v50
	v_accvgpr_write_b32 a93, v49
	;; [unrolled: 1-line block ×3, first 2 shown]
	v_fmac_f64_e32 v[42:43], v[38:39], v[48:49]
	v_fma_f64 v[48:49], v[56:57], v[72:73], -v[32:33]
	v_mov_b32_e32 v32, 1
	v_lshrrev_b16_sdwa v32, v32, v208 dst_sel:DWORD dst_unused:UNUSED_PAD src0_sel:DWORD src1_sel:BYTE_0
	v_mul_lo_u16_e32 v32, 0xbb, v32
	v_lshrrev_b16_e32 v56, 11, v32
	v_mul_lo_u16_e32 v32, 22, v56
	v_sub_u16_e32 v32, v208, v32
	v_and_b32_e32 v57, 0xff, v32
	v_accvgpr_write_b32 a91, v75
	v_lshlrev_b32_e32 v32, 5, v57
	v_accvgpr_write_b32 a90, v74
	v_accvgpr_write_b32 a89, v73
	;; [unrolled: 1-line block ×3, first 2 shown]
	v_fmac_f64_e32 v[66:67], v[58:59], v[72:73]
	global_load_dwordx4 v[72:75], v32, s[12:13] offset:192
	global_load_dwordx4 v[76:79], v32, s[12:13] offset:176
	s_waitcnt vmcnt(1) lgkmcnt(9)
	v_mul_f64 v[38:39], v[70:71], v[74:75]
	s_waitcnt vmcnt(0)
	v_mul_f64 v[32:33], v[62:63], v[78:79]
	v_mul_f64 v[36:37], v[60:61], v[78:79]
	v_accvgpr_write_b32 a103, v79
	v_fma_f64 v[32:33], v[60:61], v[76:77], -v[32:33]
	v_accvgpr_write_b32 a102, v78
	v_accvgpr_write_b32 a101, v77
	;; [unrolled: 1-line block ×3, first 2 shown]
	v_fmac_f64_e32 v[36:37], v[62:63], v[76:77]
	v_lshrrev_b32_e32 v76, 20, v45
	v_mul_lo_u16_e32 v45, 22, v76
	v_sub_u16_e32 v77, v40, v45
	v_lshlrev_b16_e32 v45, 5, v77
	v_add_co_u32_e64 v58, s[2:3], s12, v45
	v_mov_b32_e32 v45, s13
	v_mul_f64 v[50:51], v[68:69], v[74:75]
	v_accvgpr_write_b32 a99, v75
	v_addc_co_u32_e64 v59, s[2:3], 0, v45, s[2:3]
	v_fma_f64 v[38:39], v[68:69], v[72:73], -v[38:39]
	v_accvgpr_write_b32 a98, v74
	v_accvgpr_write_b32 a97, v73
	;; [unrolled: 1-line block ×3, first 2 shown]
	v_fmac_f64_e32 v[50:51], v[70:71], v[72:73]
	global_load_dwordx4 v[60:63], v[58:59], off offset:192
	global_load_dwordx4 v[70:73], v[58:59], off offset:176
	v_lshrrev_b32_e32 v78, 20, v53
	s_waitcnt vmcnt(1)
	v_accvgpr_write_b32 a107, v63
	s_waitcnt vmcnt(0) lgkmcnt(7)
	v_mul_f64 v[58:59], v[30:31], v[72:73]
	v_fma_f64 v[68:69], v[28:29], v[70:71], -v[58:59]
	v_mul_f64 v[28:29], v[28:29], v[72:73]
	v_fmac_f64_e32 v[28:29], v[30:31], v[70:71]
	s_waitcnt lgkmcnt(6)
	v_mul_f64 v[30:31], v[26:27], v[62:63]
	v_fma_f64 v[30:31], v[24:25], v[60:61], -v[30:31]
	v_mul_f64 v[24:25], v[24:25], v[62:63]
	v_fmac_f64_e32 v[24:25], v[26:27], v[60:61]
	v_mul_lo_u16_e32 v26, 22, v78
	v_sub_u16_e32 v79, v47, v26
	v_lshlrev_b16_e32 v26, 5, v79
	v_add_co_u32_e64 v26, s[2:3], s12, v26
	v_accvgpr_write_b32 a111, v73
	v_addc_co_u32_e64 v27, s[2:3], 0, v45, s[2:3]
	v_accvgpr_write_b32 a110, v72
	v_accvgpr_write_b32 a109, v71
	;; [unrolled: 1-line block ×6, first 2 shown]
	global_load_dwordx4 v[58:61], v[26:27], off offset:192
	global_load_dwordx4 v[70:73], v[26:27], off offset:176
	s_waitcnt vmcnt(1)
	v_accvgpr_write_b32 a115, v61
	s_waitcnt vmcnt(0) lgkmcnt(4)
	v_mul_f64 v[26:27], v[22:23], v[72:73]
	v_fma_f64 v[26:27], v[20:21], v[70:71], -v[26:27]
	v_mul_f64 v[20:21], v[20:21], v[72:73]
	v_fmac_f64_e32 v[20:21], v[22:23], v[70:71]
	s_waitcnt lgkmcnt(3)
	v_mul_f64 v[22:23], v[18:19], v[60:61]
	v_fma_f64 v[22:23], v[16:17], v[58:59], -v[22:23]
	v_mul_f64 v[16:17], v[16:17], v[60:61]
	v_fmac_f64_e32 v[16:17], v[18:19], v[58:59]
	v_mul_lo_u16_e32 v18, 22, v80
	v_sub_u16_e32 v81, v46, v18
	v_lshlrev_b16_e32 v18, 5, v81
	v_add_co_u32_e64 v18, s[2:3], s12, v18
	v_accvgpr_write_b32 a119, v73
	v_addc_co_u32_e64 v19, s[2:3], 0, v45, s[2:3]
	v_accvgpr_write_b32 a118, v72
	v_accvgpr_write_b32 a117, v71
	;; [unrolled: 1-line block ×6, first 2 shown]
	global_load_dwordx4 v[58:61], v[18:19], off offset:192
	global_load_dwordx4 v[72:75], v[18:19], off offset:176
	s_mov_b32 s2, 0xe8584caa
	s_mov_b32 s3, 0x3febb67a
	;; [unrolled: 1-line block ×3, first 2 shown]
	s_waitcnt lgkmcnt(0)
	s_barrier
	s_waitcnt vmcnt(1)
	v_accvgpr_write_b32 a123, v61
	s_waitcnt vmcnt(0)
	v_accvgpr_write_b32 a127, v75
	v_mul_f64 v[18:19], v[14:15], v[74:75]
	v_mul_f64 v[70:71], v[12:13], v[74:75]
	v_accvgpr_write_b32 a126, v74
	v_accvgpr_write_b32 a125, v73
	;; [unrolled: 1-line block ×3, first 2 shown]
	v_mul_f64 v[74:75], v[8:9], v[60:61]
	v_fma_f64 v[62:63], v[12:13], v[72:73], -v[18:19]
	v_mul_f64 v[12:13], v[10:11], v[60:61]
	v_fmac_f64_e32 v[74:75], v[10:11], v[58:59]
	v_add_f64 v[10:11], v[34:35], v[48:49]
	v_fmac_f64_e32 v[70:71], v[14:15], v[72:73]
	v_fma_f64 v[72:73], v[8:9], v[58:59], -v[12:13]
	v_add_f64 v[8:9], v[148:149], v[34:35]
	v_fmac_f64_e32 v[148:149], -0.5, v[10:11]
	v_add_f64 v[10:11], v[42:43], -v[66:67]
	v_add_f64 v[14:15], v[42:43], v[66:67]
	v_fma_f64 v[12:13], s[2:3], v[10:11], v[148:149]
	v_fmac_f64_e32 v[148:149], s[4:5], v[10:11]
	v_add_f64 v[10:11], v[150:151], v[42:43]
	v_fmac_f64_e32 v[150:151], -0.5, v[14:15]
	v_add_f64 v[18:19], v[34:35], -v[48:49]
	v_fma_f64 v[14:15], s[4:5], v[18:19], v[150:151]
	v_fmac_f64_e32 v[150:151], s[2:3], v[18:19]
	v_add_f64 v[18:19], v[144:145], v[32:33]
	v_add_f64 v[46:47], v[18:19], v[38:39]
	;; [unrolled: 1-line block ×3, first 2 shown]
	v_fmac_f64_e32 v[144:145], -0.5, v[18:19]
	v_add_f64 v[18:19], v[36:37], -v[50:51]
	v_fma_f64 v[34:35], s[2:3], v[18:19], v[144:145]
	v_fmac_f64_e32 v[144:145], s[4:5], v[18:19]
	v_add_f64 v[18:19], v[146:147], v[36:37]
	v_add_f64 v[8:9], v[8:9], v[48:49]
	;; [unrolled: 1-line block ×4, first 2 shown]
	v_fmac_f64_e32 v[146:147], -0.5, v[18:19]
	v_add_f64 v[18:19], v[32:33], -v[38:39]
	v_fma_f64 v[36:37], s[4:5], v[18:19], v[146:147]
	v_fmac_f64_e32 v[146:147], s[2:3], v[18:19]
	v_add_f64 v[18:19], v[140:141], v[68:69]
	v_add_f64 v[50:51], v[18:19], v[30:31]
	;; [unrolled: 1-line block ×3, first 2 shown]
	v_fmac_f64_e32 v[140:141], -0.5, v[18:19]
	v_add_f64 v[18:19], v[28:29], -v[24:25]
	v_accvgpr_write_b32 a122, v60
	v_accvgpr_write_b32 a121, v59
	v_accvgpr_write_b32 a120, v58
	v_fma_f64 v[58:59], s[2:3], v[18:19], v[140:141]
	v_fmac_f64_e32 v[140:141], s[4:5], v[18:19]
	v_add_f64 v[18:19], v[142:143], v[28:29]
	v_add_f64 v[52:53], v[18:19], v[24:25]
	v_add_f64 v[18:19], v[28:29], v[24:25]
	v_fmac_f64_e32 v[142:143], -0.5, v[18:19]
	v_add_f64 v[18:19], v[68:69], -v[30:31]
	v_fma_f64 v[60:61], s[4:5], v[18:19], v[142:143]
	v_fmac_f64_e32 v[142:143], s[2:3], v[18:19]
	v_add_f64 v[18:19], v[4:5], v[26:27]
	v_add_f64 v[28:29], v[18:19], v[22:23]
	v_add_f64 v[18:19], v[26:27], v[22:23]
	v_fmac_f64_e32 v[4:5], -0.5, v[18:19]
	v_add_f64 v[24:25], v[20:21], -v[16:17]
	;; [unrolled: 7-line block ×4, first 2 shown]
	v_add_f64 v[10:11], v[10:11], v[66:67]
	v_fma_f64 v[66:67], s[2:3], v[16:17], v[0:1]
	v_fmac_f64_e32 v[0:1], s[4:5], v[16:17]
	v_add_f64 v[16:17], v[2:3], v[70:71]
	v_add_f64 v[24:25], v[16:17], v[74:75]
	;; [unrolled: 1-line block ×3, first 2 shown]
	v_fmac_f64_e32 v[2:3], -0.5, v[16:17]
	v_add_f64 v[16:17], v[62:63], -v[72:73]
	v_fma_f64 v[68:69], s[4:5], v[16:17], v[2:3]
	v_fmac_f64_e32 v[2:3], s[2:3], v[16:17]
	v_mul_u32_u24_e32 v16, 0x42, v54
	s_movk_i32 s2, 0xffbe
	v_add_lshl_u32 v16, v16, v55, 4
	v_add_co_u32_e64 v32, s[2:3], s2, v214
	s_movk_i32 s4, 0x42
	ds_write_b128 v16, v[8:11]
	ds_write_b128 v16, v[12:15] offset:352
	v_mul_u32_u24_e32 v8, 0x42, v56
	v_addc_co_u32_e64 v33, s[2:3], 0, -1, s[2:3]
	ds_write_b128 v16, v[148:151] offset:704
	v_add_lshl_u32 v148, v8, v57, 4
	v_mad_legacy_u16 v8, v76, s4, v77
	v_cmp_gt_u16_e64 s[2:3], s4, v214
	ds_write_b128 v148, v[46:49]
	ds_write_b128 v148, v[34:37] offset:352
	ds_write_b128 v148, v[144:147] offset:704
	v_lshlrev_b32_e32 v144, 4, v8
	v_mad_legacy_u16 v8, v78, s4, v79
	v_cndmask_b32_e64 v33, v33, 0, s[2:3]
	v_cndmask_b32_e64 v32, v32, v214, s[2:3]
	ds_write_b128 v144, v[50:53]
	ds_write_b128 v144, v[58:61] offset:352
	ds_write_b128 v144, v[140:143] offset:704
	v_lshlrev_b32_e32 v140, 4, v8
	v_lshlrev_b64 v[38:39], 6, v[32:33]
	ds_write_b128 v140, v[28:31]
	ds_write_b128 v140, v[18:21] offset:352
	ds_write_b128 v140, v[4:7] offset:704
	v_mad_legacy_u16 v4, v80, s4, v81
	v_add_co_u32_e64 v38, s[2:3], s12, v38
	v_lshlrev_b32_e32 v141, 4, v4
	v_addc_co_u32_e64 v39, s[2:3], v45, v39, s[2:3]
	v_accvgpr_write_b32 a87, v16
	ds_write_b128 v141, v[22:25]
	ds_write_b128 v141, v[66:69] offset:352
	ds_write_b128 v141, v[0:3] offset:704
	s_waitcnt lgkmcnt(0)
	s_barrier
	ds_read_b128 v[200:203], v158
	ds_read_b128 v[34:37], v158 offset:5280
	ds_read_b128 v[46:49], v158 offset:10560
	ds_read_b128 v[50:53], v158 offset:15840
	ds_read_b128 v[54:57], v158 offset:21120
	ds_read_b128 v[196:199], v158 offset:1760
	ds_read_b128 v[28:31], v158 offset:7040
	ds_read_b128 v[24:27], v158 offset:12320
	ds_read_b128 v[20:23], v158 offset:17600
	ds_read_b128 v[16:19], v158 offset:22880
	ds_read_b128 v[192:195], v158 offset:3520
	ds_read_b128 v[12:15], v158 offset:8800
	ds_read_b128 v[8:11], v158 offset:14080
	ds_read_b128 v[4:7], v158 offset:19360
	ds_read_b128 v[0:3], v158 offset:24640
	global_load_dwordx4 v[58:61], v[38:39], off offset:928
	global_load_dwordx4 v[72:75], v[38:39], off offset:912
	;; [unrolled: 1-line block ×4, first 2 shown]
	s_movk_i32 s2, 0xf9
	v_mul_lo_u16_sdwa v33, v208, s2 dst_sel:DWORD dst_unused:UNUSED_PAD src0_sel:BYTE_0 src1_sel:DWORD
	v_lshrrev_b16_e32 v33, 14, v33
	s_mov_b32 s2, 0xf83f
	s_mov_b32 s4, 0x4755a5e
	;; [unrolled: 1-line block ×4, first 2 shown]
	s_waitcnt vmcnt(3) lgkmcnt(10)
	v_mul_f64 v[42:43], v[56:57], v[60:61]
	s_waitcnt vmcnt(2)
	v_accvgpr_write_b32 a139, v75
	v_fma_f64 v[210:211], v[54:55], v[58:59], -v[42:43]
	s_waitcnt vmcnt(0)
	v_mul_f64 v[38:39], v[36:37], v[82:83]
	v_fma_f64 v[68:69], v[34:35], v[80:81], -v[38:39]
	v_mul_f64 v[34:35], v[34:35], v[82:83]
	v_fmac_f64_e32 v[34:35], v[36:37], v[80:81]
	v_mul_f64 v[36:37], v[48:49], v[78:79]
	v_fma_f64 v[70:71], v[46:47], v[76:77], -v[36:37]
	v_mul_f64 v[36:37], v[46:47], v[78:79]
	v_mul_lo_u16_e32 v46, 0x42, v33
	v_sub_u16_e32 v46, v208, v46
	v_mul_f64 v[38:39], v[52:53], v[74:75]
	v_and_b32_e32 v46, 0xff, v46
	v_fma_f64 v[204:205], v[50:51], v[72:73], -v[38:39]
	v_mul_f64 v[38:39], v[50:51], v[74:75]
	v_mul_f64 v[42:43], v[54:55], v[60:61]
	v_accvgpr_write_b32 a135, v61
	v_lshlrev_b32_e32 v47, 6, v46
	v_accvgpr_write_b32 a138, v74
	v_accvgpr_write_b32 a137, v73
	;; [unrolled: 1-line block ×3, first 2 shown]
	v_fmac_f64_e32 v[38:39], v[52:53], v[72:73]
	v_accvgpr_write_b32 a134, v60
	v_accvgpr_write_b32 a133, v59
	;; [unrolled: 1-line block ×3, first 2 shown]
	v_fmac_f64_e32 v[42:43], v[56:57], v[58:59]
	global_load_dwordx4 v[50:53], v47, s[12:13] offset:928
	global_load_dwordx4 v[54:57], v47, s[12:13] offset:912
	;; [unrolled: 1-line block ×4, first 2 shown]
	v_fmac_f64_e32 v[36:37], v[48:49], v[76:77]
	v_accvgpr_write_b32 a143, v79
	v_accvgpr_write_b32 a142, v78
	;; [unrolled: 1-line block ×4, first 2 shown]
	s_movk_i32 s13, 0x1000
	v_accvgpr_write_b32 a147, v83
	v_accvgpr_write_b32 a146, v82
	;; [unrolled: 1-line block ×4, first 2 shown]
	s_waitcnt vmcnt(3)
	v_accvgpr_write_b32 a151, v53
	s_waitcnt vmcnt(2)
	v_accvgpr_write_b32 a155, v57
	;; [unrolled: 2-line block ×3, first 2 shown]
	s_waitcnt vmcnt(0) lgkmcnt(8)
	v_mul_f64 v[48:49], v[30:31], v[74:75]
	v_fma_f64 v[206:207], v[28:29], v[72:73], -v[48:49]
	v_mul_f64 v[28:29], v[28:29], v[74:75]
	v_fmac_f64_e32 v[28:29], v[30:31], v[72:73]
	s_waitcnt lgkmcnt(7)
	v_mul_f64 v[30:31], v[26:27], v[60:61]
	v_fma_f64 v[30:31], v[24:25], v[58:59], -v[30:31]
	v_mul_f64 v[24:25], v[24:25], v[60:61]
	v_fmac_f64_e32 v[24:25], v[26:27], v[58:59]
	s_waitcnt lgkmcnt(6)
	v_mul_f64 v[26:27], v[22:23], v[56:57]
	v_fma_f64 v[26:27], v[20:21], v[54:55], -v[26:27]
	v_mul_f64 v[20:21], v[20:21], v[56:57]
	v_fmac_f64_e32 v[20:21], v[22:23], v[54:55]
	s_waitcnt lgkmcnt(5)
	v_mul_f64 v[22:23], v[18:19], v[52:53]
	v_fma_f64 v[22:23], v[16:17], v[50:51], -v[22:23]
	v_mul_f64 v[16:17], v[16:17], v[52:53]
	v_fmac_f64_e32 v[16:17], v[18:19], v[50:51]
	v_mul_u32_u24_sdwa v18, v40, s2 dst_sel:DWORD dst_unused:UNUSED_PAD src0_sel:WORD_0 src1_sel:DWORD
	v_lshrrev_b32_e32 v47, 22, v18
	v_mul_lo_u16_e32 v18, 0x42, v47
	v_accvgpr_write_b32 a158, v60
	v_accvgpr_write_b32 a157, v59
	;; [unrolled: 1-line block ×3, first 2 shown]
	v_sub_u16_e32 v58, v40, v18
	v_lshlrev_b16_e32 v18, 6, v58
	v_add_co_u32_e64 v18, s[2:3], s12, v18
	v_accvgpr_write_b32 a163, v75
	v_addc_co_u32_e64 v19, s[2:3], 0, v45, s[2:3]
	v_accvgpr_write_b32 a162, v74
	v_accvgpr_write_b32 a161, v73
	;; [unrolled: 1-line block ×9, first 2 shown]
	global_load_dwordx4 v[60:63], v[18:19], off offset:928
	global_load_dwordx4 v[72:75], v[18:19], off offset:912
	;; [unrolled: 1-line block ×4, first 2 shown]
	s_movk_i32 s2, 0x41
	v_cmp_lt_u16_e64 s[2:3], s2, v214
	s_waitcnt lgkmcnt(0)
	s_barrier
	s_waitcnt vmcnt(3)
	v_mul_f64 v[66:67], v[0:1], v[62:63]
	v_fmac_f64_e32 v[66:67], v[2:3], v[60:61]
	s_waitcnt vmcnt(1)
	v_accvgpr_write_b32 a175, v57
	s_waitcnt vmcnt(0)
	v_mul_f64 v[18:19], v[14:15], v[50:51]
	v_fma_f64 v[212:213], v[12:13], v[48:49], -v[18:19]
	v_mul_f64 v[18:19], v[12:13], v[50:51]
	v_accvgpr_write_b32 a179, v51
	v_mul_f64 v[12:13], v[10:11], v[56:57]
	v_accvgpr_write_b32 a178, v50
	v_accvgpr_write_b32 a177, v49
	;; [unrolled: 1-line block ×3, first 2 shown]
	v_fmac_f64_e32 v[18:19], v[14:15], v[48:49]
	v_fma_f64 v[52:53], v[8:9], v[54:55], -v[12:13]
	v_mul_f64 v[48:49], v[8:9], v[56:57]
	v_mul_f64 v[8:9], v[6:7], v[74:75]
	v_accvgpr_write_b32 a174, v56
	v_accvgpr_write_b32 a173, v55
	;; [unrolled: 1-line block ×3, first 2 shown]
	v_fmac_f64_e32 v[48:49], v[10:11], v[54:55]
	v_fma_f64 v[54:55], v[4:5], v[72:73], -v[8:9]
	v_mul_f64 v[50:51], v[4:5], v[74:75]
	v_mul_f64 v[4:5], v[2:3], v[62:63]
	v_fma_f64 v[56:57], v[0:1], v[60:61], -v[4:5]
	v_add_f64 v[0:1], v[200:201], v[68:69]
	v_add_f64 v[0:1], v[0:1], v[70:71]
	;; [unrolled: 1-line block ×5, first 2 shown]
	v_fma_f64 v[0:1], -0.5, v[0:1], v[200:201]
	v_add_f64 v[2:3], v[34:35], -v[42:43]
	v_fmac_f64_e32 v[50:51], v[6:7], v[72:73]
	v_fma_f64 v[8:9], s[14:15], v[2:3], v[0:1]
	v_add_f64 v[6:7], v[36:37], -v[38:39]
	v_add_f64 v[10:11], v[68:69], -v[70:71]
	;; [unrolled: 1-line block ×3, first 2 shown]
	v_fmac_f64_e32 v[0:1], s[18:19], v[2:3]
	v_fmac_f64_e32 v[8:9], s[4:5], v[6:7]
	v_add_f64 v[10:11], v[10:11], v[12:13]
	v_fmac_f64_e32 v[0:1], s[20:21], v[6:7]
	v_fmac_f64_e32 v[8:9], s[16:17], v[10:11]
	;; [unrolled: 1-line block ×3, first 2 shown]
	v_add_f64 v[10:11], v[68:69], v[210:211]
	v_fmac_f64_e32 v[200:201], -0.5, v[10:11]
	v_fma_f64 v[12:13], s[18:19], v[6:7], v[200:201]
	v_fmac_f64_e32 v[200:201], s[14:15], v[6:7]
	v_fmac_f64_e32 v[12:13], s[4:5], v[2:3]
	;; [unrolled: 1-line block ×3, first 2 shown]
	v_add_f64 v[2:3], v[202:203], v[34:35]
	v_add_f64 v[2:3], v[2:3], v[36:37]
	;; [unrolled: 1-line block ×3, first 2 shown]
	v_accvgpr_write_b32 a167, v63
	v_add_f64 v[10:11], v[70:71], -v[68:69]
	v_add_f64 v[14:15], v[204:205], -v[210:211]
	v_add_f64 v[6:7], v[2:3], v[42:43]
	v_add_f64 v[2:3], v[36:37], v[38:39]
	v_accvgpr_write_b32 a166, v62
	v_accvgpr_write_b32 a165, v61
	;; [unrolled: 1-line block ×3, first 2 shown]
	v_add_f64 v[10:11], v[10:11], v[14:15]
	v_fma_f64 v[2:3], -0.5, v[2:3], v[202:203]
	v_add_f64 v[60:61], v[68:69], -v[210:211]
	v_fmac_f64_e32 v[12:13], s[16:17], v[10:11]
	v_fmac_f64_e32 v[200:201], s[16:17], v[10:11]
	v_fma_f64 v[10:11], s[18:19], v[60:61], v[2:3]
	v_add_f64 v[62:63], v[70:71], -v[204:205]
	v_add_f64 v[14:15], v[34:35], -v[36:37]
	;; [unrolled: 1-line block ×3, first 2 shown]
	v_fmac_f64_e32 v[2:3], s[14:15], v[60:61]
	v_fmac_f64_e32 v[10:11], s[20:21], v[62:63]
	v_add_f64 v[14:15], v[14:15], v[68:69]
	v_fmac_f64_e32 v[2:3], s[4:5], v[62:63]
	v_fmac_f64_e32 v[10:11], s[16:17], v[14:15]
	;; [unrolled: 1-line block ×3, first 2 shown]
	v_add_f64 v[14:15], v[34:35], v[42:43]
	v_fmac_f64_e32 v[202:203], -0.5, v[14:15]
	v_add_f64 v[34:35], v[36:37], -v[34:35]
	v_add_f64 v[36:37], v[38:39], -v[42:43]
	v_fma_f64 v[14:15], s[14:15], v[62:63], v[202:203]
	v_add_f64 v[34:35], v[34:35], v[36:37]
	v_fmac_f64_e32 v[202:203], s[18:19], v[62:63]
	v_add_f64 v[36:37], v[30:31], v[26:27]
	v_fmac_f64_e32 v[14:15], s[20:21], v[60:61]
	v_fmac_f64_e32 v[202:203], s[4:5], v[60:61]
	v_fma_f64 v[60:61], -0.5, v[36:37], v[196:197]
	v_add_f64 v[36:37], v[28:29], -v[16:17]
	v_fma_f64 v[68:69], s[14:15], v[36:37], v[60:61]
	v_add_f64 v[38:39], v[24:25], -v[20:21]
	v_add_f64 v[42:43], v[206:207], -v[30:31]
	;; [unrolled: 1-line block ×3, first 2 shown]
	v_fmac_f64_e32 v[60:61], s[18:19], v[36:37]
	v_fmac_f64_e32 v[68:69], s[4:5], v[38:39]
	v_add_f64 v[42:43], v[42:43], v[62:63]
	v_fmac_f64_e32 v[60:61], s[20:21], v[38:39]
	v_fmac_f64_e32 v[14:15], s[16:17], v[34:35]
	;; [unrolled: 1-line block ×3, first 2 shown]
	v_add_f64 v[34:35], v[196:197], v[206:207]
	v_fmac_f64_e32 v[68:69], s[16:17], v[42:43]
	v_fmac_f64_e32 v[60:61], s[16:17], v[42:43]
	v_add_f64 v[42:43], v[206:207], v[22:23]
	v_accvgpr_write_b32 a171, v75
	v_add_f64 v[34:35], v[34:35], v[30:31]
	v_fmac_f64_e32 v[196:197], -0.5, v[42:43]
	v_accvgpr_write_b32 a170, v74
	v_accvgpr_write_b32 a169, v73
	;; [unrolled: 1-line block ×3, first 2 shown]
	v_add_f64 v[34:35], v[34:35], v[26:27]
	v_fma_f64 v[72:73], s[18:19], v[38:39], v[196:197]
	v_add_f64 v[42:43], v[30:31], -v[206:207]
	v_add_f64 v[62:63], v[26:27], -v[22:23]
	v_fmac_f64_e32 v[196:197], s[14:15], v[38:39]
	v_add_f64 v[38:39], v[24:25], v[20:21]
	v_add_f64 v[34:35], v[34:35], v[22:23]
	;; [unrolled: 1-line block ×3, first 2 shown]
	v_fma_f64 v[62:63], -0.5, v[38:39], v[198:199]
	v_add_f64 v[22:23], v[206:207], -v[22:23]
	v_fma_f64 v[70:71], s[18:19], v[22:23], v[62:63]
	v_add_f64 v[26:27], v[30:31], -v[26:27]
	v_add_f64 v[30:31], v[28:29], -v[24:25]
	;; [unrolled: 1-line block ×3, first 2 shown]
	v_fmac_f64_e32 v[62:63], s[14:15], v[22:23]
	v_fmac_f64_e32 v[72:73], s[4:5], v[36:37]
	v_fmac_f64_e32 v[196:197], s[20:21], v[36:37]
	v_add_f64 v[36:37], v[198:199], v[28:29]
	v_fmac_f64_e32 v[70:71], s[20:21], v[26:27]
	v_add_f64 v[30:31], v[30:31], v[38:39]
	v_fmac_f64_e32 v[62:63], s[4:5], v[26:27]
	;; [unrolled: 2-line block ×3, first 2 shown]
	v_fmac_f64_e32 v[62:63], s[16:17], v[30:31]
	v_add_f64 v[30:31], v[28:29], v[16:17]
	v_add_f64 v[36:37], v[36:37], v[20:21]
	v_fmac_f64_e32 v[198:199], -0.5, v[30:31]
	v_add_f64 v[36:37], v[36:37], v[16:17]
	v_fma_f64 v[74:75], s[14:15], v[26:27], v[198:199]
	v_add_f64 v[24:25], v[24:25], -v[28:29]
	v_add_f64 v[16:17], v[20:21], -v[16:17]
	v_fmac_f64_e32 v[198:199], s[18:19], v[26:27]
	v_fmac_f64_e32 v[74:75], s[20:21], v[22:23]
	v_add_f64 v[16:17], v[24:25], v[16:17]
	v_fmac_f64_e32 v[198:199], s[4:5], v[22:23]
	v_fmac_f64_e32 v[74:75], s[16:17], v[16:17]
	;; [unrolled: 1-line block ×3, first 2 shown]
	v_add_f64 v[16:17], v[192:193], v[212:213]
	v_add_f64 v[16:17], v[16:17], v[52:53]
	;; [unrolled: 1-line block ×5, first 2 shown]
	v_fma_f64 v[24:25], -0.5, v[16:17], v[192:193]
	v_add_f64 v[16:17], v[18:19], -v[66:67]
	v_fma_f64 v[28:29], s[14:15], v[16:17], v[24:25]
	v_add_f64 v[22:23], v[48:49], -v[50:51]
	v_add_f64 v[26:27], v[212:213], -v[52:53]
	;; [unrolled: 1-line block ×3, first 2 shown]
	v_fmac_f64_e32 v[24:25], s[18:19], v[16:17]
	v_fmac_f64_e32 v[28:29], s[4:5], v[22:23]
	v_add_f64 v[26:27], v[26:27], v[30:31]
	v_fmac_f64_e32 v[24:25], s[20:21], v[22:23]
	v_fmac_f64_e32 v[28:29], s[16:17], v[26:27]
	;; [unrolled: 1-line block ×3, first 2 shown]
	v_add_f64 v[26:27], v[212:213], v[56:57]
	v_fmac_f64_e32 v[192:193], -0.5, v[26:27]
	v_fma_f64 v[76:77], s[18:19], v[22:23], v[192:193]
	v_fmac_f64_e32 v[192:193], s[14:15], v[22:23]
	v_fmac_f64_e32 v[76:77], s[4:5], v[16:17]
	v_fmac_f64_e32 v[192:193], s[20:21], v[16:17]
	v_add_f64 v[16:17], v[194:195], v[18:19]
	v_add_f64 v[16:17], v[16:17], v[48:49]
	v_add_f64 v[26:27], v[52:53], -v[212:213]
	v_add_f64 v[30:31], v[54:55], -v[56:57]
	v_add_f64 v[16:17], v[16:17], v[50:51]
	v_add_f64 v[26:27], v[26:27], v[30:31]
	;; [unrolled: 1-line block ×4, first 2 shown]
	v_fmac_f64_e32 v[76:77], s[16:17], v[26:27]
	v_fmac_f64_e32 v[192:193], s[16:17], v[26:27]
	v_fma_f64 v[26:27], -0.5, v[16:17], v[194:195]
	v_add_f64 v[16:17], v[212:213], -v[56:57]
	v_fmac_f64_e32 v[72:73], s[16:17], v[42:43]
	v_fmac_f64_e32 v[196:197], s[16:17], v[42:43]
	v_fma_f64 v[30:31], s[18:19], v[16:17], v[26:27]
	v_add_f64 v[38:39], v[52:53], -v[54:55]
	v_add_f64 v[42:43], v[18:19], -v[48:49]
	v_add_f64 v[52:53], v[66:67], -v[50:51]
	v_fmac_f64_e32 v[26:27], s[14:15], v[16:17]
	v_fmac_f64_e32 v[30:31], s[20:21], v[38:39]
	v_add_f64 v[42:43], v[42:43], v[52:53]
	v_fmac_f64_e32 v[26:27], s[4:5], v[38:39]
	v_fmac_f64_e32 v[30:31], s[16:17], v[42:43]
	;; [unrolled: 1-line block ×3, first 2 shown]
	v_add_f64 v[42:43], v[18:19], v[66:67]
	v_fmac_f64_e32 v[194:195], -0.5, v[42:43]
	v_fma_f64 v[78:79], s[14:15], v[38:39], v[194:195]
	v_fmac_f64_e32 v[194:195], s[18:19], v[38:39]
	v_fmac_f64_e32 v[78:79], s[20:21], v[16:17]
	;; [unrolled: 1-line block ×3, first 2 shown]
	v_mov_b32_e32 v16, 0x14a
	v_add_f64 v[18:19], v[48:49], -v[18:19]
	v_add_f64 v[42:43], v[50:51], -v[66:67]
	v_cndmask_b32_e64 v16, 0, v16, s[2:3]
	v_add_f64 v[18:19], v[18:19], v[42:43]
	v_add_lshl_u32 v142, v32, v16, 4
	v_lshlrev_b32_e32 v42, 6, v214
	ds_write_b128 v142, v[4:7]
	ds_write_b128 v142, v[8:11] offset:1056
	ds_write_b128 v142, v[12:15] offset:2112
	;; [unrolled: 1-line block ×4, first 2 shown]
	v_mul_u32_u24_e32 v0, 0x14a, v33
	v_add_co_u32_e64 v54, s[2:3], s12, v42
	v_add_lshl_u32 v143, v0, v46, 4
	v_mad_legacy_u16 v0, v47, s22, v58
	v_addc_co_u32_e64 v55, s[2:3], 0, v45, s[2:3]
	s_movk_i32 s22, 0x13f0
	v_add_co_u32_e64 v42, s[2:3], s22, v54
	v_addc_co_u32_e64 v43, s[2:3], 0, v55, s[2:3]
	v_add_co_u32_e64 v54, s[2:3], s13, v54
	v_fmac_f64_e32 v[194:195], s[16:17], v[18:19]
	v_lshlrev_b32_e32 v145, 4, v0
	v_addc_co_u32_e64 v55, s[2:3], 0, v55, s[2:3]
	v_fmac_f64_e32 v[78:79], s[16:17], v[18:19]
	ds_write_b128 v143, v[34:37]
	ds_write_b128 v143, v[68:71] offset:1056
	ds_write_b128 v143, v[72:75] offset:2112
	;; [unrolled: 1-line block ×4, first 2 shown]
	ds_write_b128 v145, v[20:23]
	ds_write_b128 v145, v[28:31] offset:1056
	ds_write_b128 v145, v[76:79] offset:2112
	;; [unrolled: 1-line block ×4, first 2 shown]
	s_waitcnt lgkmcnt(0)
	s_barrier
	ds_read_b128 v[4:7], v158
	ds_read_b128 v[32:35], v158 offset:5280
	ds_read_b128 v[36:39], v158 offset:10560
	;; [unrolled: 1-line block ×14, first 2 shown]
	global_load_dwordx4 v[196:199], v[54:55], off offset:1008
	global_load_dwordx4 v[192:195], v[42:43], off offset:48
	global_load_dwordx4 v[200:203], v[42:43], off offset:32
	global_load_dwordx4 v[204:207], v[42:43], off offset:16
	s_waitcnt vmcnt(3) lgkmcnt(13)
	v_mul_f64 v[42:43], v[34:35], v[198:199]
	v_fma_f64 v[42:43], v[32:33], v[196:197], -v[42:43]
	v_mul_f64 v[32:33], v[32:33], v[198:199]
	v_fmac_f64_e32 v[32:33], v[34:35], v[196:197]
	s_waitcnt vmcnt(0) lgkmcnt(12)
	v_mul_f64 v[34:35], v[38:39], v[206:207]
	v_fma_f64 v[68:69], v[36:37], v[204:205], -v[34:35]
	v_mul_f64 v[34:35], v[36:37], v[206:207]
	s_waitcnt lgkmcnt(11)
	v_mul_f64 v[36:37], v[48:49], v[202:203]
	v_fma_f64 v[70:71], v[46:47], v[200:201], -v[36:37]
	v_mul_f64 v[36:37], v[46:47], v[202:203]
	v_lshlrev_b32_e32 v46, 6, v208
	v_fmac_f64_e32 v[36:37], v[48:49], v[200:201]
	v_add_co_u32_e64 v48, s[2:3], s12, v46
	v_addc_co_u32_e64 v49, s[2:3], 0, v45, s[2:3]
	v_add_co_u32_e64 v46, s[2:3], s22, v48
	v_addc_co_u32_e64 v47, s[2:3], 0, v49, s[2:3]
	;; [unrolled: 2-line block ×3, first 2 shown]
	global_load_dwordx4 v[216:219], v[48:49], off offset:1008
	global_load_dwordx4 v[208:211], v[46:47], off offset:48
	;; [unrolled: 1-line block ×4, first 2 shown]
	v_fmac_f64_e32 v[34:35], v[38:39], v[204:205]
	s_waitcnt lgkmcnt(10)
	v_mul_f64 v[38:39], v[52:53], v[194:195]
	v_fma_f64 v[66:67], v[50:51], v[192:193], -v[38:39]
	v_mul_f64 v[38:39], v[50:51], v[194:195]
	v_fmac_f64_e32 v[38:39], v[52:53], v[192:193]
	s_waitcnt vmcnt(3) lgkmcnt(8)
	v_mul_f64 v[46:47], v[30:31], v[218:219]
	v_fma_f64 v[252:253], v[28:29], v[216:217], -v[46:47]
	v_mul_f64 v[28:29], v[28:29], v[218:219]
	v_fmac_f64_e32 v[28:29], v[30:31], v[216:217]
	s_waitcnt vmcnt(0) lgkmcnt(7)
	v_mul_f64 v[30:31], v[26:27], v[222:223]
	v_fma_f64 v[254:255], v[24:25], v[220:221], -v[30:31]
	v_mul_f64 v[24:25], v[24:25], v[222:223]
	v_fmac_f64_e32 v[24:25], v[26:27], v[220:221]
	s_waitcnt lgkmcnt(6)
	v_mul_f64 v[26:27], v[22:23], v[214:215]
	v_fma_f64 v[48:49], v[20:21], v[212:213], -v[26:27]
	v_mul_f64 v[26:27], v[20:21], v[214:215]
	s_waitcnt lgkmcnt(5)
	v_mul_f64 v[20:21], v[18:19], v[210:211]
	v_fma_f64 v[50:51], v[16:17], v[208:209], -v[20:21]
	v_mul_f64 v[30:31], v[16:17], v[210:211]
	v_lshlrev_b64 v[16:17], 6, v[40:41]
	v_fmac_f64_e32 v[30:31], v[18:19], v[208:209]
	v_add_co_u32_e64 v18, s[2:3], s12, v16
	v_addc_co_u32_e64 v19, s[2:3], v45, v17, s[2:3]
	v_add_co_u32_e64 v16, s[2:3], s22, v18
	v_addc_co_u32_e64 v17, s[2:3], 0, v19, s[2:3]
	;; [unrolled: 2-line block ×3, first 2 shown]
	global_load_dwordx4 v[232:235], v[18:19], off offset:1008
	global_load_dwordx4 v[224:227], v[16:17], off offset:48
	global_load_dwordx4 v[228:231], v[16:17], off offset:32
	global_load_dwordx4 v[236:239], v[16:17], off offset:16
	v_add_f64 v[18:19], v[42:43], -v[68:69]
	v_add_f64 v[20:21], v[66:67], -v[70:71]
	v_add_f64 v[18:19], v[18:19], v[20:21]
	v_fmac_f64_e32 v[26:27], v[22:23], v[212:213]
	v_add_f64 v[22:23], v[70:71], -v[66:67]
	v_add_f64 v[46:47], v[68:69], -v[70:71]
	s_movk_i32 s2, 0x6720
	s_movk_i32 s12, 0x6000
	s_waitcnt vmcnt(3) lgkmcnt(3)
	v_mul_f64 v[16:17], v[250:251], v[234:235]
	v_fma_f64 v[58:59], v[248:249], v[232:233], -v[16:17]
	s_waitcnt vmcnt(1) lgkmcnt(1)
	v_mul_f64 v[54:55], v[12:13], v[230:231]
	s_waitcnt vmcnt(0)
	v_mul_f64 v[16:17], v[246:247], v[238:239]
	v_fma_f64 v[60:61], v[244:245], v[236:237], -v[16:17]
	v_mul_f64 v[16:17], v[14:15], v[230:231]
	v_mul_f64 v[52:53], v[244:245], v[238:239]
	v_fma_f64 v[62:63], v[12:13], v[228:229], -v[16:17]
	s_waitcnt lgkmcnt(0)
	v_mul_f64 v[12:13], v[10:11], v[226:227]
	v_fmac_f64_e32 v[52:53], v[246:247], v[236:237]
	v_fma_f64 v[246:247], v[8:9], v[224:225], -v[12:13]
	v_mul_f64 v[56:57], v[8:9], v[226:227]
	v_add_f64 v[8:9], v[4:5], v[42:43]
	v_add_f64 v[8:9], v[8:9], v[68:69]
	;; [unrolled: 1-line block ×5, first 2 shown]
	v_fmac_f64_e32 v[56:57], v[10:11], v[224:225]
	v_fma_f64 v[8:9], -0.5, v[8:9], v[4:5]
	v_add_f64 v[10:11], v[32:33], -v[38:39]
	v_fmac_f64_e32 v[54:55], v[14:15], v[228:229]
	v_fma_f64 v[16:17], s[14:15], v[10:11], v[8:9]
	v_add_f64 v[14:15], v[34:35], -v[36:37]
	v_fmac_f64_e32 v[8:9], s[18:19], v[10:11]
	v_fmac_f64_e32 v[16:17], s[4:5], v[14:15]
	;; [unrolled: 1-line block ×5, first 2 shown]
	v_add_f64 v[18:19], v[42:43], v[66:67]
	v_fmac_f64_e32 v[4:5], -0.5, v[18:19]
	v_fma_f64 v[20:21], s[18:19], v[14:15], v[4:5]
	v_fmac_f64_e32 v[4:5], s[14:15], v[14:15]
	v_fmac_f64_e32 v[20:21], s[4:5], v[10:11]
	v_fmac_f64_e32 v[4:5], s[20:21], v[10:11]
	v_add_f64 v[10:11], v[6:7], v[32:33]
	v_add_f64 v[10:11], v[10:11], v[34:35]
	;; [unrolled: 1-line block ×3, first 2 shown]
	v_add_f64 v[18:19], v[68:69], -v[42:43]
	v_add_f64 v[14:15], v[10:11], v[38:39]
	v_add_f64 v[10:11], v[34:35], v[36:37]
	;; [unrolled: 1-line block ×3, first 2 shown]
	v_fma_f64 v[10:11], -0.5, v[10:11], v[6:7]
	v_add_f64 v[42:43], v[42:43], -v[66:67]
	v_fmac_f64_e32 v[20:21], s[16:17], v[18:19]
	v_fmac_f64_e32 v[4:5], s[16:17], v[18:19]
	v_fma_f64 v[18:19], s[18:19], v[42:43], v[10:11]
	v_add_f64 v[22:23], v[32:33], -v[34:35]
	v_add_f64 v[66:67], v[38:39], -v[36:37]
	v_fmac_f64_e32 v[10:11], s[14:15], v[42:43]
	v_fmac_f64_e32 v[18:19], s[20:21], v[46:47]
	v_add_f64 v[22:23], v[22:23], v[66:67]
	v_fmac_f64_e32 v[10:11], s[4:5], v[46:47]
	v_fmac_f64_e32 v[18:19], s[16:17], v[22:23]
	;; [unrolled: 1-line block ×3, first 2 shown]
	v_add_f64 v[22:23], v[32:33], v[38:39]
	v_add_f64 v[32:33], v[34:35], -v[32:33]
	v_add_f64 v[34:35], v[36:37], -v[38:39]
	v_fmac_f64_e32 v[6:7], -0.5, v[22:23]
	v_add_f64 v[32:33], v[32:33], v[34:35]
	v_add_f64 v[34:35], v[254:255], v[48:49]
	v_fma_f64 v[22:23], s[14:15], v[46:47], v[6:7]
	v_fmac_f64_e32 v[6:7], s[18:19], v[46:47]
	v_fma_f64 v[36:37], -0.5, v[34:35], v[0:1]
	v_add_f64 v[34:35], v[28:29], -v[30:31]
	v_fmac_f64_e32 v[22:23], s[20:21], v[42:43]
	v_fmac_f64_e32 v[6:7], s[4:5], v[42:43]
	v_fma_f64 v[66:67], s[14:15], v[34:35], v[36:37]
	v_add_f64 v[38:39], v[24:25], -v[26:27]
	v_add_f64 v[42:43], v[252:253], -v[254:255]
	;; [unrolled: 1-line block ×3, first 2 shown]
	v_fmac_f64_e32 v[36:37], s[18:19], v[34:35]
	v_fmac_f64_e32 v[66:67], s[4:5], v[38:39]
	v_add_f64 v[42:43], v[42:43], v[46:47]
	v_fmac_f64_e32 v[36:37], s[20:21], v[38:39]
	v_fmac_f64_e32 v[66:67], s[16:17], v[42:43]
	;; [unrolled: 1-line block ×3, first 2 shown]
	v_add_f64 v[42:43], v[252:253], v[50:51]
	v_fmac_f64_e32 v[22:23], s[16:17], v[32:33]
	v_fmac_f64_e32 v[6:7], s[16:17], v[32:33]
	v_add_f64 v[32:33], v[0:1], v[252:253]
	v_fmac_f64_e32 v[0:1], -0.5, v[42:43]
	v_fma_f64 v[46:47], s[18:19], v[38:39], v[0:1]
	v_add_f64 v[42:43], v[254:255], -v[252:253]
	v_add_f64 v[68:69], v[48:49], -v[50:51]
	v_fmac_f64_e32 v[0:1], s[14:15], v[38:39]
	v_add_f64 v[32:33], v[32:33], v[254:255]
	v_fmac_f64_e32 v[46:47], s[4:5], v[34:35]
	v_add_f64 v[42:43], v[42:43], v[68:69]
	;; [unrolled: 2-line block ×3, first 2 shown]
	v_add_f64 v[32:33], v[32:33], v[48:49]
	v_fmac_f64_e32 v[46:47], s[16:17], v[42:43]
	v_fmac_f64_e32 v[0:1], s[16:17], v[42:43]
	v_fma_f64 v[38:39], -0.5, v[38:39], v[2:3]
	v_add_f64 v[42:43], v[252:253], -v[50:51]
	v_add_f64 v[32:33], v[32:33], v[50:51]
	v_add_f64 v[34:35], v[2:3], v[28:29]
	v_fma_f64 v[68:69], s[18:19], v[42:43], v[38:39]
	v_add_f64 v[50:51], v[254:255], -v[48:49]
	v_add_f64 v[48:49], v[28:29], -v[24:25]
	;; [unrolled: 1-line block ×3, first 2 shown]
	v_fmac_f64_e32 v[38:39], s[14:15], v[42:43]
	v_add_f64 v[34:35], v[34:35], v[24:25]
	v_fmac_f64_e32 v[68:69], s[20:21], v[50:51]
	v_add_f64 v[48:49], v[48:49], v[70:71]
	v_fmac_f64_e32 v[38:39], s[4:5], v[50:51]
	v_mul_f64 v[40:41], v[248:249], v[234:235]
	v_add_f64 v[34:35], v[34:35], v[26:27]
	v_fmac_f64_e32 v[68:69], s[16:17], v[48:49]
	v_fmac_f64_e32 v[38:39], s[16:17], v[48:49]
	v_add_f64 v[48:49], v[28:29], v[30:31]
	v_add_f64 v[24:25], v[24:25], -v[28:29]
	v_add_f64 v[26:27], v[26:27], -v[30:31]
	v_fmac_f64_e32 v[40:41], v[250:251], v[232:233]
	v_fmac_f64_e32 v[2:3], -0.5, v[48:49]
	v_add_f64 v[24:25], v[24:25], v[26:27]
	v_add_f64 v[26:27], v[60:61], v[62:63]
	v_fma_f64 v[48:49], s[14:15], v[50:51], v[2:3]
	v_fmac_f64_e32 v[2:3], s[18:19], v[50:51]
	v_fma_f64 v[248:249], -0.5, v[26:27], v[240:241]
	v_add_f64 v[26:27], v[40:41], -v[56:57]
	v_add_f64 v[34:35], v[34:35], v[30:31]
	v_fmac_f64_e32 v[48:49], s[20:21], v[42:43]
	v_fmac_f64_e32 v[2:3], s[4:5], v[42:43]
	v_fma_f64 v[244:245], s[14:15], v[26:27], v[248:249]
	v_add_f64 v[28:29], v[52:53], -v[54:55]
	v_add_f64 v[30:31], v[58:59], -v[60:61]
	;; [unrolled: 1-line block ×3, first 2 shown]
	v_fmac_f64_e32 v[248:249], s[18:19], v[26:27]
	v_fmac_f64_e32 v[244:245], s[4:5], v[28:29]
	v_add_f64 v[30:31], v[30:31], v[42:43]
	v_fmac_f64_e32 v[248:249], s[20:21], v[28:29]
	v_fmac_f64_e32 v[244:245], s[16:17], v[30:31]
	;; [unrolled: 1-line block ×3, first 2 shown]
	v_add_f64 v[30:31], v[58:59], v[246:247]
	v_fmac_f64_e32 v[48:49], s[16:17], v[24:25]
	v_fmac_f64_e32 v[2:3], s[16:17], v[24:25]
	v_add_f64 v[24:25], v[240:241], v[58:59]
	v_fmac_f64_e32 v[240:241], -0.5, v[30:31]
	v_add_f64 v[24:25], v[24:25], v[60:61]
	v_fma_f64 v[252:253], s[18:19], v[28:29], v[240:241]
	v_add_f64 v[30:31], v[60:61], -v[58:59]
	v_add_f64 v[42:43], v[62:63], -v[246:247]
	v_fmac_f64_e32 v[240:241], s[14:15], v[28:29]
	v_add_f64 v[28:29], v[52:53], v[54:55]
	v_add_f64 v[24:25], v[24:25], v[62:63]
	v_fmac_f64_e32 v[252:253], s[4:5], v[26:27]
	v_add_f64 v[30:31], v[30:31], v[42:43]
	v_fmac_f64_e32 v[240:241], s[20:21], v[26:27]
	v_fma_f64 v[250:251], -0.5, v[28:29], v[242:243]
	v_add_f64 v[28:29], v[58:59], -v[246:247]
	v_add_f64 v[24:25], v[24:25], v[246:247]
	v_fmac_f64_e32 v[252:253], s[16:17], v[30:31]
	v_fmac_f64_e32 v[240:241], s[16:17], v[30:31]
	v_fma_f64 v[246:247], s[18:19], v[28:29], v[250:251]
	v_add_f64 v[30:31], v[60:61], -v[62:63]
	v_add_f64 v[42:43], v[40:41], -v[52:53]
	;; [unrolled: 1-line block ×3, first 2 shown]
	v_fmac_f64_e32 v[250:251], s[14:15], v[28:29]
	v_fmac_f64_e32 v[246:247], s[20:21], v[30:31]
	v_add_f64 v[42:43], v[42:43], v[50:51]
	v_fmac_f64_e32 v[250:251], s[4:5], v[30:31]
	v_fmac_f64_e32 v[246:247], s[16:17], v[42:43]
	;; [unrolled: 1-line block ×3, first 2 shown]
	v_add_f64 v[42:43], v[40:41], v[56:57]
	v_add_f64 v[26:27], v[242:243], v[40:41]
	v_fmac_f64_e32 v[242:243], -0.5, v[42:43]
	v_add_f64 v[26:27], v[26:27], v[52:53]
	v_fma_f64 v[254:255], s[14:15], v[30:31], v[242:243]
	v_add_f64 v[40:41], v[52:53], -v[40:41]
	v_add_f64 v[42:43], v[54:55], -v[56:57]
	v_fmac_f64_e32 v[242:243], s[18:19], v[30:31]
	v_add_f64 v[26:27], v[26:27], v[54:55]
	v_fmac_f64_e32 v[254:255], s[20:21], v[28:29]
	v_add_f64 v[40:41], v[40:41], v[42:43]
	;; [unrolled: 2-line block ×3, first 2 shown]
	v_fmac_f64_e32 v[254:255], s[16:17], v[40:41]
	v_fmac_f64_e32 v[242:243], s[16:17], v[40:41]
	ds_write_b128 v158, v[12:15]
	ds_write_b128 v158, v[16:19] offset:5280
	ds_write_b128 v158, v[20:23] offset:10560
	;; [unrolled: 1-line block ×14, first 2 shown]
	v_add_co_u32_e64 v0, s[2:3], s2, v64
	v_addc_co_u32_e64 v1, s[2:3], 0, v44, s[2:3]
	v_add_co_u32_e64 v6, s[2:3], s12, v64
	v_addc_co_u32_e64 v7, s[2:3], 0, v44, s[2:3]
	s_waitcnt lgkmcnt(0)
	s_barrier
	global_load_dwordx4 v[6:9], v[6:7], off offset:1824
	ds_read_b128 v[2:5], v158
	s_movk_i32 s2, 0x7000
	s_waitcnt vmcnt(0) lgkmcnt(0)
	v_mul_f64 v[10:11], v[4:5], v[8:9]
	v_mul_f64 v[12:13], v[2:3], v[8:9]
	v_fma_f64 v[10:11], v[2:3], v[6:7], -v[10:11]
	v_fmac_f64_e32 v[12:13], v[4:5], v[6:7]
	global_load_dwordx4 v[6:9], v[0:1], off offset:2400
	ds_read_b128 v[2:5], v158 offset:2400
	ds_write_b128 v158, v[10:13]
	s_waitcnt vmcnt(0) lgkmcnt(1)
	v_mul_f64 v[10:11], v[4:5], v[8:9]
	v_mul_f64 v[12:13], v[2:3], v[8:9]
	v_fma_f64 v[10:11], v[2:3], v[6:7], -v[10:11]
	v_fmac_f64_e32 v[12:13], v[4:5], v[6:7]
	v_add_co_u32_e64 v6, s[2:3], s2, v64
	v_addc_co_u32_e64 v7, s[2:3], 0, v44, s[2:3]
	global_load_dwordx4 v[6:9], v[6:7], off offset:2528
	ds_read_b128 v[2:5], v158 offset:4800
	s_mov_b32 s2, 0x8000
	v_add_co_u32_e64 v14, s[2:3], s2, v64
	ds_write_b128 v158, v[10:13] offset:2400
	v_addc_co_u32_e64 v15, s[2:3], 0, v44, s[2:3]
	s_mov_b32 s2, 0x9000
	s_waitcnt vmcnt(0) lgkmcnt(1)
	v_mul_f64 v[10:11], v[4:5], v[8:9]
	v_mul_f64 v[12:13], v[2:3], v[8:9]
	v_fma_f64 v[10:11], v[2:3], v[6:7], -v[10:11]
	v_fmac_f64_e32 v[12:13], v[4:5], v[6:7]
	global_load_dwordx4 v[6:9], v[14:15], off offset:832
	ds_read_b128 v[2:5], v158 offset:7200
	ds_write_b128 v158, v[10:13] offset:4800
	s_waitcnt vmcnt(0) lgkmcnt(1)
	v_mul_f64 v[10:11], v[4:5], v[8:9]
	v_mul_f64 v[12:13], v[2:3], v[8:9]
	v_fma_f64 v[10:11], v[2:3], v[6:7], -v[10:11]
	v_fmac_f64_e32 v[12:13], v[4:5], v[6:7]
	global_load_dwordx4 v[6:9], v[14:15], off offset:3232
	ds_read_b128 v[2:5], v158 offset:9600
	v_add_co_u32_e64 v14, s[2:3], s2, v64
	ds_write_b128 v158, v[10:13] offset:7200
	v_addc_co_u32_e64 v15, s[2:3], 0, v44, s[2:3]
	s_mov_b32 s2, 0xa000
	s_waitcnt vmcnt(0) lgkmcnt(1)
	v_mul_f64 v[10:11], v[4:5], v[8:9]
	v_mul_f64 v[12:13], v[2:3], v[8:9]
	v_fma_f64 v[10:11], v[2:3], v[6:7], -v[10:11]
	v_fmac_f64_e32 v[12:13], v[4:5], v[6:7]
	global_load_dwordx4 v[6:9], v[14:15], off offset:1536
	ds_read_b128 v[2:5], v158 offset:12000
	ds_write_b128 v158, v[10:13] offset:9600
	s_waitcnt vmcnt(0) lgkmcnt(1)
	v_mul_f64 v[10:11], v[4:5], v[8:9]
	v_mul_f64 v[12:13], v[2:3], v[8:9]
	v_fma_f64 v[10:11], v[2:3], v[6:7], -v[10:11]
	v_fmac_f64_e32 v[12:13], v[4:5], v[6:7]
	global_load_dwordx4 v[6:9], v[14:15], off offset:3936
	ds_read_b128 v[2:5], v158 offset:14400
	ds_write_b128 v158, v[10:13] offset:12000
	s_waitcnt vmcnt(0) lgkmcnt(1)
	v_mul_f64 v[10:11], v[4:5], v[8:9]
	v_mul_f64 v[12:13], v[2:3], v[8:9]
	v_fma_f64 v[10:11], v[2:3], v[6:7], -v[10:11]
	v_fmac_f64_e32 v[12:13], v[4:5], v[6:7]
	v_add_co_u32_e64 v6, s[2:3], s2, v64
	v_addc_co_u32_e64 v7, s[2:3], 0, v44, s[2:3]
	global_load_dwordx4 v[6:9], v[6:7], off offset:2240
	ds_read_b128 v[2:5], v158 offset:16800
	s_mov_b32 s2, 0xb000
	v_add_co_u32_e64 v14, s[2:3], s2, v64
	ds_write_b128 v158, v[10:13] offset:14400
	v_addc_co_u32_e64 v15, s[2:3], 0, v44, s[2:3]
	s_mov_b32 s2, 0xc000
	s_waitcnt vmcnt(0) lgkmcnt(1)
	v_mul_f64 v[10:11], v[4:5], v[8:9]
	v_mul_f64 v[12:13], v[2:3], v[8:9]
	v_fma_f64 v[10:11], v[2:3], v[6:7], -v[10:11]
	v_fmac_f64_e32 v[12:13], v[4:5], v[6:7]
	global_load_dwordx4 v[6:9], v[14:15], off offset:544
	ds_read_b128 v[2:5], v158 offset:19200
	ds_write_b128 v158, v[10:13] offset:16800
	s_waitcnt vmcnt(0) lgkmcnt(1)
	v_mul_f64 v[10:11], v[4:5], v[8:9]
	v_mul_f64 v[12:13], v[2:3], v[8:9]
	v_fma_f64 v[10:11], v[2:3], v[6:7], -v[10:11]
	v_fmac_f64_e32 v[12:13], v[4:5], v[6:7]
	global_load_dwordx4 v[6:9], v[14:15], off offset:2944
	ds_read_b128 v[2:5], v158 offset:21600
	ds_write_b128 v158, v[10:13] offset:19200
	s_waitcnt vmcnt(0) lgkmcnt(1)
	v_mul_f64 v[10:11], v[4:5], v[8:9]
	v_mul_f64 v[12:13], v[2:3], v[8:9]
	v_fma_f64 v[10:11], v[2:3], v[6:7], -v[10:11]
	v_fmac_f64_e32 v[12:13], v[4:5], v[6:7]
	v_add_co_u32_e64 v6, s[2:3], s2, v64
	v_addc_co_u32_e64 v7, s[2:3], 0, v44, s[2:3]
	global_load_dwordx4 v[6:9], v[6:7], off offset:1248
	ds_read_b128 v[2:5], v158 offset:24000
	ds_write_b128 v158, v[10:13] offset:21600
	s_waitcnt vmcnt(0) lgkmcnt(1)
	v_mul_f64 v[10:11], v[4:5], v[8:9]
	v_mul_f64 v[12:13], v[2:3], v[8:9]
	v_fma_f64 v[10:11], v[2:3], v[6:7], -v[10:11]
	v_fmac_f64_e32 v[12:13], v[4:5], v[6:7]
	ds_write_b128 v158, v[10:13] offset:24000
	s_and_saveexec_b64 s[4:5], vcc
	s_cbranch_execz .LBB0_13
; %bb.12:
	global_load_dwordx4 v[6:9], v[0:1], off offset:1760
	ds_read_b128 v[2:5], v158 offset:1760
	v_add_co_u32_e64 v14, s[2:3], s13, v0
	v_addc_co_u32_e64 v15, s[2:3], 0, v1, s[2:3]
	s_movk_i32 s2, 0x2000
	s_waitcnt vmcnt(0) lgkmcnt(0)
	v_mul_f64 v[10:11], v[4:5], v[8:9]
	v_mul_f64 v[12:13], v[2:3], v[8:9]
	v_fma_f64 v[10:11], v[2:3], v[6:7], -v[10:11]
	v_fmac_f64_e32 v[12:13], v[4:5], v[6:7]
	global_load_dwordx4 v[6:9], v[14:15], off offset:64
	ds_read_b128 v[2:5], v158 offset:4160
	ds_write_b128 v158, v[10:13] offset:1760
	s_waitcnt vmcnt(0) lgkmcnt(1)
	v_mul_f64 v[10:11], v[4:5], v[8:9]
	v_mul_f64 v[12:13], v[2:3], v[8:9]
	v_fma_f64 v[10:11], v[2:3], v[6:7], -v[10:11]
	v_fmac_f64_e32 v[12:13], v[4:5], v[6:7]
	global_load_dwordx4 v[6:9], v[14:15], off offset:2464
	ds_read_b128 v[2:5], v158 offset:6560
	v_add_co_u32_e64 v14, s[2:3], s2, v0
	ds_write_b128 v158, v[10:13] offset:4160
	v_addc_co_u32_e64 v15, s[2:3], 0, v1, s[2:3]
	s_movk_i32 s2, 0x3000
	s_waitcnt vmcnt(0) lgkmcnt(1)
	v_mul_f64 v[10:11], v[4:5], v[8:9]
	v_mul_f64 v[12:13], v[2:3], v[8:9]
	v_fma_f64 v[10:11], v[2:3], v[6:7], -v[10:11]
	v_fmac_f64_e32 v[12:13], v[4:5], v[6:7]
	global_load_dwordx4 v[6:9], v[14:15], off offset:768
	ds_read_b128 v[2:5], v158 offset:8960
	ds_write_b128 v158, v[10:13] offset:6560
	s_waitcnt vmcnt(0) lgkmcnt(1)
	v_mul_f64 v[10:11], v[4:5], v[8:9]
	v_mul_f64 v[12:13], v[2:3], v[8:9]
	v_fma_f64 v[10:11], v[2:3], v[6:7], -v[10:11]
	v_fmac_f64_e32 v[12:13], v[4:5], v[6:7]
	global_load_dwordx4 v[6:9], v[14:15], off offset:3168
	ds_read_b128 v[2:5], v158 offset:11360
	v_add_co_u32_e64 v14, s[2:3], s2, v0
	ds_write_b128 v158, v[10:13] offset:8960
	v_addc_co_u32_e64 v15, s[2:3], 0, v1, s[2:3]
	s_movk_i32 s2, 0x4000
	s_waitcnt vmcnt(0) lgkmcnt(1)
	v_mul_f64 v[10:11], v[4:5], v[8:9]
	v_mul_f64 v[12:13], v[2:3], v[8:9]
	v_fma_f64 v[10:11], v[2:3], v[6:7], -v[10:11]
	v_fmac_f64_e32 v[12:13], v[4:5], v[6:7]
	global_load_dwordx4 v[6:9], v[14:15], off offset:1472
	ds_read_b128 v[2:5], v158 offset:13760
	ds_write_b128 v158, v[10:13] offset:11360
	s_waitcnt vmcnt(0) lgkmcnt(1)
	v_mul_f64 v[10:11], v[4:5], v[8:9]
	v_mul_f64 v[12:13], v[2:3], v[8:9]
	v_fma_f64 v[10:11], v[2:3], v[6:7], -v[10:11]
	v_fmac_f64_e32 v[12:13], v[4:5], v[6:7]
	global_load_dwordx4 v[6:9], v[14:15], off offset:3872
	ds_read_b128 v[2:5], v158 offset:16160
	ds_write_b128 v158, v[10:13] offset:13760
	s_waitcnt vmcnt(0) lgkmcnt(1)
	v_mul_f64 v[10:11], v[4:5], v[8:9]
	v_mul_f64 v[12:13], v[2:3], v[8:9]
	v_fma_f64 v[10:11], v[2:3], v[6:7], -v[10:11]
	v_fmac_f64_e32 v[12:13], v[4:5], v[6:7]
	v_add_co_u32_e64 v6, s[2:3], s2, v0
	v_addc_co_u32_e64 v7, s[2:3], 0, v1, s[2:3]
	global_load_dwordx4 v[6:9], v[6:7], off offset:2176
	ds_read_b128 v[2:5], v158 offset:18560
	s_movk_i32 s2, 0x5000
	v_add_co_u32_e64 v14, s[2:3], s2, v0
	ds_write_b128 v158, v[10:13] offset:16160
	v_addc_co_u32_e64 v15, s[2:3], 0, v1, s[2:3]
	v_add_co_u32_e64 v0, s[2:3], s12, v0
	v_addc_co_u32_e64 v1, s[2:3], 0, v1, s[2:3]
	s_waitcnt vmcnt(0) lgkmcnt(1)
	v_mul_f64 v[10:11], v[4:5], v[8:9]
	v_mul_f64 v[12:13], v[2:3], v[8:9]
	v_fma_f64 v[10:11], v[2:3], v[6:7], -v[10:11]
	v_fmac_f64_e32 v[12:13], v[4:5], v[6:7]
	global_load_dwordx4 v[6:9], v[14:15], off offset:480
	ds_read_b128 v[2:5], v158 offset:20960
	ds_write_b128 v158, v[10:13] offset:18560
	s_waitcnt vmcnt(0) lgkmcnt(1)
	v_mul_f64 v[10:11], v[4:5], v[8:9]
	v_mul_f64 v[12:13], v[2:3], v[8:9]
	v_fma_f64 v[10:11], v[2:3], v[6:7], -v[10:11]
	v_fmac_f64_e32 v[12:13], v[4:5], v[6:7]
	global_load_dwordx4 v[6:9], v[14:15], off offset:2880
	ds_read_b128 v[2:5], v158 offset:23360
	ds_write_b128 v158, v[10:13] offset:20960
	;; [unrolled: 8-line block ×3, first 2 shown]
	s_waitcnt vmcnt(0) lgkmcnt(1)
	v_mul_f64 v[0:1], v[4:5], v[8:9]
	v_fma_f64 v[0:1], v[2:3], v[6:7], -v[0:1]
	v_mul_f64 v[2:3], v[2:3], v[8:9]
	v_fmac_f64_e32 v[2:3], v[4:5], v[6:7]
	ds_write_b128 v158, v[0:3] offset:25760
.LBB0_13:
	s_or_b64 exec, exec, s[4:5]
	s_waitcnt lgkmcnt(0)
	s_barrier
	ds_read_b128 v[32:35], v158
	ds_read_b128 v[40:43], v158 offset:2400
	ds_read_b128 v[28:31], v158 offset:4800
	ds_read_b128 v[16:19], v158 offset:7200
	ds_read_b128 v[8:11], v158 offset:9600
	ds_read_b128 v[0:3], v158 offset:12000
	ds_read_b128 v[4:7], v158 offset:14400
	ds_read_b128 v[12:15], v158 offset:16800
	ds_read_b128 v[20:23], v158 offset:19200
	ds_read_b128 v[36:39], v158 offset:21600
	ds_read_b128 v[68:71], v158 offset:24000
	s_and_saveexec_b64 s[2:3], vcc
	s_cbranch_execz .LBB0_15
; %bb.14:
	ds_read_b128 v[244:247], v158 offset:1760
	ds_read_b128 v[252:255], v158 offset:4160
	;; [unrolled: 1-line block ×11, first 2 shown]
.LBB0_15:
	s_or_b64 exec, exec, s[2:3]
	s_waitcnt lgkmcnt(9)
	v_add_f64 v[24:25], v[32:33], v[40:41]
	v_add_f64 v[26:27], v[34:35], v[42:43]
	s_waitcnt lgkmcnt(8)
	v_add_f64 v[24:25], v[24:25], v[28:29]
	v_add_f64 v[26:27], v[26:27], v[30:31]
	;; [unrolled: 3-line block ×6, first 2 shown]
	s_waitcnt lgkmcnt(3)
	v_add_f64 v[24:25], v[24:25], v[12:13]
	s_mov_b32 s4, 0xf8bb580b
	s_mov_b32 s14, 0x8eee2c13
	;; [unrolled: 1-line block ×4, first 2 shown]
	v_add_f64 v[26:27], v[26:27], v[14:15]
	s_waitcnt lgkmcnt(2)
	v_add_f64 v[24:25], v[24:25], v[20:21]
	s_waitcnt lgkmcnt(0)
	v_add_f64 v[46:47], v[42:43], v[70:71]
	v_add_f64 v[42:43], v[42:43], -v[70:71]
	s_mov_b32 s5, 0xbfe14ced
	s_mov_b32 s2, 0x8764f0ba
	;; [unrolled: 1-line block ×9, first 2 shown]
	v_add_f64 v[26:27], v[26:27], v[22:23]
	v_add_f64 v[24:25], v[24:25], v[36:37]
	;; [unrolled: 1-line block ×3, first 2 shown]
	v_mul_f64 v[48:49], v[42:43], s[4:5]
	s_mov_b32 s3, 0x3feaeb8c
	v_mul_f64 v[56:57], v[42:43], s[14:15]
	s_mov_b32 s13, 0x3fda9628
	;; [unrolled: 2-line block ×5, first 2 shown]
	v_add_f64 v[26:27], v[26:27], v[38:39]
	v_add_f64 v[24:25], v[24:25], v[68:69]
	v_add_f64 v[40:41], v[40:41], -v[68:69]
	v_fma_f64 v[50:51], s[2:3], v[44:45], v[48:49]
	v_fma_f64 v[48:49], v[44:45], s[2:3], -v[48:49]
	v_fma_f64 v[58:59], s[12:13], v[44:45], v[56:57]
	v_fma_f64 v[56:57], v[44:45], s[12:13], -v[56:57]
	;; [unrolled: 2-line block ×5, first 2 shown]
	v_add_f64 v[26:27], v[26:27], v[70:71]
	v_add_f64 v[50:51], v[32:33], v[50:51]
	v_mul_f64 v[52:53], v[46:47], s[2:3]
	s_mov_b32 s27, 0x3fe14ced
	s_mov_b32 s26, s4
	v_add_f64 v[48:49], v[32:33], v[48:49]
	v_add_f64 v[58:59], v[32:33], v[58:59]
	v_mul_f64 v[60:61], v[46:47], s[12:13]
	s_mov_b32 s36, s14
	v_add_f64 v[56:57], v[32:33], v[56:57]
	v_add_f64 v[68:69], v[32:33], v[68:69]
	v_mul_f64 v[70:71], v[46:47], s[16:17]
	s_mov_b32 s31, 0x3fefac9e
	s_mov_b32 s30, s18
	v_add_f64 v[66:67], v[32:33], v[66:67]
	v_add_f64 v[76:77], v[32:33], v[76:77]
	v_mul_f64 v[78:79], v[46:47], s[20:21]
	s_mov_b32 s39, 0x3fe82f19
	s_mov_b32 s38, s22
	v_add_f64 v[74:75], v[32:33], v[74:75]
	v_add_f64 v[82:83], v[32:33], v[82:83]
	v_mul_f64 v[46:47], v[46:47], s[24:25]
	s_mov_b32 s35, 0x3fd207e7
	s_mov_b32 s34, s28
	v_add_f64 v[32:33], v[32:33], v[42:43]
	v_add_f64 v[42:43], v[30:31], v[38:39]
	v_add_f64 v[30:31], v[30:31], -v[38:39]
	v_fma_f64 v[54:55], s[26:27], v[40:41], v[52:53]
	v_fmac_f64_e32 v[52:53], s[4:5], v[40:41]
	v_fma_f64 v[62:63], s[36:37], v[40:41], v[60:61]
	v_fmac_f64_e32 v[60:61], s[14:15], v[40:41]
	;; [unrolled: 2-line block ×5, first 2 shown]
	v_add_f64 v[40:41], v[28:29], v[36:37]
	v_add_f64 v[28:29], v[28:29], -v[36:37]
	v_mul_f64 v[36:37], v[30:31], s[14:15]
	v_fma_f64 v[38:39], s[12:13], v[40:41], v[36:37]
	v_mul_f64 v[44:45], v[42:43], s[12:13]
	v_fma_f64 v[36:37], v[40:41], s[12:13], -v[36:37]
	v_add_f64 v[54:55], v[34:35], v[54:55]
	v_add_f64 v[52:53], v[34:35], v[52:53]
	;; [unrolled: 1-line block ×10, first 2 shown]
	v_fma_f64 v[46:47], s[36:37], v[28:29], v[44:45]
	v_add_f64 v[36:37], v[36:37], v[48:49]
	v_fmac_f64_e32 v[44:45], s[14:15], v[28:29]
	v_mul_f64 v[48:49], v[30:31], s[22:23]
	v_add_f64 v[38:39], v[38:39], v[50:51]
	v_add_f64 v[44:45], v[44:45], v[52:53]
	v_fma_f64 v[50:51], s[20:21], v[40:41], v[48:49]
	v_mul_f64 v[52:53], v[42:43], s[20:21]
	v_fma_f64 v[48:49], v[40:41], s[20:21], -v[48:49]
	v_add_f64 v[46:47], v[46:47], v[54:55]
	v_fma_f64 v[54:55], s[38:39], v[28:29], v[52:53]
	v_add_f64 v[48:49], v[48:49], v[56:57]
	v_fmac_f64_e32 v[52:53], s[22:23], v[28:29]
	v_mul_f64 v[56:57], v[30:31], s[34:35]
	v_add_f64 v[50:51], v[50:51], v[58:59]
	v_add_f64 v[52:53], v[52:53], v[60:61]
	v_fma_f64 v[58:59], s[24:25], v[40:41], v[56:57]
	v_mul_f64 v[60:61], v[42:43], s[24:25]
	v_fma_f64 v[56:57], v[40:41], s[24:25], -v[56:57]
	v_add_f64 v[54:55], v[54:55], v[62:63]
	v_fma_f64 v[62:63], s[28:29], v[28:29], v[60:61]
	v_add_f64 v[56:57], v[56:57], v[66:67]
	v_fmac_f64_e32 v[60:61], s[34:35], v[28:29]
	v_mul_f64 v[66:67], v[30:31], s[30:31]
	v_add_f64 v[58:59], v[58:59], v[68:69]
	v_add_f64 v[60:61], v[60:61], v[70:71]
	v_fma_f64 v[68:69], s[16:17], v[40:41], v[66:67]
	v_mul_f64 v[70:71], v[42:43], s[16:17]
	v_mul_f64 v[42:43], v[42:43], s[2:3]
	v_add_f64 v[68:69], v[68:69], v[76:77]
	v_fma_f64 v[66:67], v[40:41], s[16:17], -v[66:67]
	v_mul_f64 v[30:31], v[30:31], s[26:27]
	v_fma_f64 v[76:77], s[4:5], v[28:29], v[42:43]
	v_fmac_f64_e32 v[42:43], s[26:27], v[28:29]
	v_add_f64 v[62:63], v[62:63], v[72:73]
	v_fma_f64 v[72:73], s[18:19], v[28:29], v[70:71]
	v_add_f64 v[66:67], v[66:67], v[74:75]
	v_fmac_f64_e32 v[70:71], s[30:31], v[28:29]
	v_fma_f64 v[74:75], s[2:3], v[40:41], v[30:31]
	v_fma_f64 v[30:31], v[40:41], s[2:3], -v[30:31]
	v_add_f64 v[28:29], v[42:43], v[34:35]
	v_add_f64 v[34:35], v[18:19], v[22:23]
	v_add_f64 v[18:19], v[18:19], -v[22:23]
	v_add_f64 v[30:31], v[30:31], v[32:33]
	v_add_f64 v[32:33], v[16:17], v[20:21]
	v_add_f64 v[16:17], v[16:17], -v[20:21]
	v_mul_f64 v[20:21], v[18:19], s[18:19]
	v_fma_f64 v[22:23], s[16:17], v[32:33], v[20:21]
	v_add_f64 v[22:23], v[22:23], v[38:39]
	v_mul_f64 v[38:39], v[34:35], s[16:17]
	v_fma_f64 v[40:41], s[30:31], v[16:17], v[38:39]
	v_fma_f64 v[20:21], v[32:33], s[16:17], -v[20:21]
	v_fmac_f64_e32 v[38:39], s[18:19], v[16:17]
	v_add_f64 v[20:21], v[20:21], v[36:37]
	v_add_f64 v[36:37], v[38:39], v[44:45]
	v_mul_f64 v[38:39], v[18:19], s[34:35]
	v_fma_f64 v[42:43], s[24:25], v[32:33], v[38:39]
	v_fma_f64 v[38:39], v[32:33], s[24:25], -v[38:39]
	v_mul_f64 v[44:45], v[34:35], s[24:25]
	v_add_f64 v[38:39], v[38:39], v[48:49]
	v_mul_f64 v[48:49], v[18:19], s[36:37]
	v_add_f64 v[40:41], v[40:41], v[46:47]
	v_add_f64 v[42:43], v[42:43], v[50:51]
	v_fma_f64 v[46:47], s[28:29], v[16:17], v[44:45]
	v_fmac_f64_e32 v[44:45], s[34:35], v[16:17]
	v_fma_f64 v[50:51], s[12:13], v[32:33], v[48:49]
	v_fma_f64 v[48:49], v[32:33], s[12:13], -v[48:49]
	v_add_f64 v[44:45], v[44:45], v[52:53]
	v_mul_f64 v[52:53], v[34:35], s[12:13]
	v_add_f64 v[48:49], v[48:49], v[56:57]
	v_mul_f64 v[56:57], v[18:19], s[4:5]
	v_add_f64 v[46:47], v[46:47], v[54:55]
	v_add_f64 v[50:51], v[50:51], v[58:59]
	v_fma_f64 v[54:55], s[14:15], v[16:17], v[52:53]
	v_fmac_f64_e32 v[52:53], s[36:37], v[16:17]
	v_fma_f64 v[58:59], s[2:3], v[32:33], v[56:57]
	v_fma_f64 v[56:57], v[32:33], s[2:3], -v[56:57]
	v_mul_f64 v[18:19], v[18:19], s[22:23]
	v_add_f64 v[52:53], v[52:53], v[60:61]
	v_mul_f64 v[60:61], v[34:35], s[2:3]
	v_add_f64 v[56:57], v[56:57], v[66:67]
	v_fma_f64 v[66:67], s[20:21], v[32:33], v[18:19]
	v_mul_f64 v[34:35], v[34:35], s[20:21]
	v_fma_f64 v[18:19], v[32:33], s[20:21], -v[18:19]
	v_add_f64 v[58:59], v[58:59], v[68:69]
	v_fma_f64 v[68:69], s[38:39], v[16:17], v[34:35]
	v_add_f64 v[18:19], v[18:19], v[30:31]
	v_fmac_f64_e32 v[34:35], s[22:23], v[16:17]
	v_add_f64 v[30:31], v[10:11], v[14:15]
	v_add_f64 v[10:11], v[10:11], -v[14:15]
	v_add_f64 v[54:55], v[54:55], v[62:63]
	v_fma_f64 v[62:63], s[26:27], v[16:17], v[60:61]
	v_fmac_f64_e32 v[60:61], s[4:5], v[16:17]
	v_add_f64 v[16:17], v[34:35], v[28:29]
	v_add_f64 v[28:29], v[8:9], v[12:13]
	v_add_f64 v[8:9], v[8:9], -v[12:13]
	v_mul_f64 v[12:13], v[10:11], s[22:23]
	v_fma_f64 v[14:15], s[20:21], v[28:29], v[12:13]
	v_add_f64 v[14:15], v[14:15], v[22:23]
	v_mul_f64 v[22:23], v[30:31], s[20:21]
	v_fma_f64 v[32:33], s[38:39], v[8:9], v[22:23]
	v_fma_f64 v[12:13], v[28:29], s[20:21], -v[12:13]
	v_fmac_f64_e32 v[22:23], s[22:23], v[8:9]
	v_add_f64 v[12:13], v[12:13], v[20:21]
	v_add_f64 v[20:21], v[22:23], v[36:37]
	v_mul_f64 v[22:23], v[10:11], s[30:31]
	v_fma_f64 v[34:35], s[16:17], v[28:29], v[22:23]
	v_mul_f64 v[36:37], v[30:31], s[16:17]
	v_fma_f64 v[22:23], v[28:29], s[16:17], -v[22:23]
	v_add_f64 v[32:33], v[32:33], v[40:41]
	v_fma_f64 v[40:41], s[18:19], v[8:9], v[36:37]
	v_add_f64 v[22:23], v[22:23], v[38:39]
	v_fmac_f64_e32 v[36:37], s[30:31], v[8:9]
	v_mul_f64 v[38:39], v[10:11], s[4:5]
	v_add_f64 v[34:35], v[34:35], v[42:43]
	v_add_f64 v[36:37], v[36:37], v[44:45]
	v_fma_f64 v[42:43], s[2:3], v[28:29], v[38:39]
	v_mul_f64 v[44:45], v[30:31], s[2:3]
	v_fma_f64 v[38:39], v[28:29], s[2:3], -v[38:39]
	v_add_f64 v[40:41], v[40:41], v[46:47]
	v_fma_f64 v[46:47], s[26:27], v[8:9], v[44:45]
	v_add_f64 v[38:39], v[38:39], v[48:49]
	v_fmac_f64_e32 v[44:45], s[4:5], v[8:9]
	v_mul_f64 v[48:49], v[10:11], s[28:29]
	v_add_f64 v[42:43], v[42:43], v[50:51]
	v_add_f64 v[44:45], v[44:45], v[52:53]
	v_fma_f64 v[50:51], s[24:25], v[28:29], v[48:49]
	v_mul_f64 v[52:53], v[30:31], s[24:25]
	v_mul_f64 v[30:31], v[30:31], s[12:13]
	v_add_f64 v[50:51], v[50:51], v[58:59]
	v_fma_f64 v[58:59], s[14:15], v[8:9], v[30:31]
	v_fmac_f64_e32 v[30:31], s[36:37], v[8:9]
	v_fma_f64 v[48:49], v[28:29], s[24:25], -v[48:49]
	v_mul_f64 v[10:11], v[10:11], s[36:37]
	v_add_f64 v[16:17], v[30:31], v[16:17]
	v_add_f64 v[30:31], v[2:3], v[6:7]
	v_add_f64 v[2:3], v[2:3], -v[6:7]
	v_add_f64 v[48:49], v[48:49], v[56:57]
	v_fma_f64 v[56:57], s[12:13], v[28:29], v[10:11]
	v_fma_f64 v[10:11], v[28:29], s[12:13], -v[10:11]
	v_add_f64 v[28:29], v[0:1], v[4:5]
	v_add_f64 v[0:1], v[0:1], -v[4:5]
	v_mul_f64 v[4:5], v[2:3], s[28:29]
	v_fma_f64 v[6:7], s[24:25], v[28:29], v[4:5]
	v_add_f64 v[46:47], v[46:47], v[54:55]
	v_fma_f64 v[54:55], s[34:35], v[8:9], v[52:53]
	v_fmac_f64_e32 v[52:53], s[28:29], v[8:9]
	v_add_f64 v[8:9], v[6:7], v[14:15]
	v_mul_f64 v[6:7], v[30:31], s[24:25]
	v_fma_f64 v[4:5], v[28:29], s[24:25], -v[4:5]
	v_add_f64 v[18:19], v[10:11], v[18:19]
	v_fma_f64 v[10:11], s[34:35], v[0:1], v[6:7]
	v_add_f64 v[12:13], v[4:5], v[12:13]
	v_fmac_f64_e32 v[6:7], s[28:29], v[0:1]
	v_mul_f64 v[4:5], v[2:3], s[26:27]
	v_add_f64 v[14:15], v[6:7], v[20:21]
	v_fma_f64 v[6:7], s[2:3], v[28:29], v[4:5]
	v_add_f64 v[106:107], v[6:7], v[34:35]
	v_mul_f64 v[6:7], v[30:31], s[2:3]
	v_fma_f64 v[4:5], v[28:29], s[2:3], -v[4:5]
	v_fma_f64 v[20:21], s[4:5], v[0:1], v[6:7]
	v_add_f64 v[110:111], v[4:5], v[22:23]
	v_fmac_f64_e32 v[6:7], s[26:27], v[0:1]
	v_mul_f64 v[4:5], v[2:3], s[22:23]
	v_add_f64 v[112:113], v[6:7], v[36:37]
	v_fma_f64 v[6:7], s[20:21], v[28:29], v[4:5]
	v_add_f64 v[114:115], v[6:7], v[42:43]
	v_mul_f64 v[6:7], v[30:31], s[20:21]
	v_fma_f64 v[4:5], v[28:29], s[20:21], -v[4:5]
	v_add_f64 v[74:75], v[74:75], v[82:83]
	v_add_f64 v[108:109], v[20:21], v[40:41]
	v_fma_f64 v[20:21], s[38:39], v[0:1], v[6:7]
	v_add_f64 v[118:119], v[4:5], v[38:39]
	v_fmac_f64_e32 v[6:7], s[22:23], v[0:1]
	v_mul_f64 v[4:5], v[2:3], s[36:37]
	v_add_f64 v[70:71], v[70:71], v[78:79]
	v_add_f64 v[66:67], v[66:67], v[74:75]
	;; [unrolled: 1-line block ×3, first 2 shown]
	v_fma_f64 v[6:7], s[12:13], v[28:29], v[4:5]
	v_fma_f64 v[4:5], v[28:29], s[12:13], -v[4:5]
	v_mul_f64 v[2:3], v[2:3], s[18:19]
	v_add_f64 v[76:77], v[76:77], v[84:85]
	v_add_f64 v[60:61], v[60:61], v[70:71]
	v_add_f64 v[56:57], v[56:57], v[66:67]
	v_add_f64 v[122:123], v[6:7], v[50:51]
	v_mul_f64 v[6:7], v[30:31], s[12:13]
	v_add_f64 v[126:127], v[4:5], v[48:49]
	v_fma_f64 v[4:5], s[16:17], v[28:29], v[2:3]
	v_add_f64 v[72:73], v[72:73], v[80:81]
	v_add_f64 v[68:69], v[68:69], v[76:77]
	;; [unrolled: 1-line block ×4, first 2 shown]
	v_fma_f64 v[20:21], s[14:15], v[0:1], v[6:7]
	v_fmac_f64_e32 v[6:7], s[36:37], v[0:1]
	v_add_f64 v[130:131], v[4:5], v[56:57]
	v_mul_f64 v[4:5], v[30:31], s[16:17]
	v_add_f64 v[62:63], v[62:63], v[72:73]
	v_add_f64 v[58:59], v[58:59], v[68:69]
	;; [unrolled: 1-line block ×3, first 2 shown]
	v_fma_f64 v[6:7], s[30:31], v[0:1], v[4:5]
	v_fmac_f64_e32 v[4:5], s[18:19], v[0:1]
	v_add_f64 v[22:23], v[254:255], -v[186:187]
	v_add_f64 v[54:55], v[54:55], v[62:63]
	v_add_f64 v[10:11], v[10:11], v[32:33]
	;; [unrolled: 1-line block ×3, first 2 shown]
	v_fma_f64 v[2:3], v[28:29], s[16:17], -v[2:3]
	v_add_f64 v[136:137], v[4:5], v[16:17]
	v_add_f64 v[16:17], v[252:253], v[184:185]
	v_add_f64 v[32:33], v[252:253], -v[184:185]
	v_mul_f64 v[58:59], v[22:23], s[18:19]
	v_add_f64 v[34:35], v[242:243], -v[170:171]
	v_add_f64 v[124:125], v[20:21], v[54:55]
	v_add_f64 v[134:135], v[2:3], v[18:19]
	;; [unrolled: 1-line block ×3, first 2 shown]
	v_fma_f64 v[0:1], s[16:17], v[16:17], v[58:59]
	v_mul_f64 v[60:61], v[32:33], s[18:19]
	v_add_f64 v[20:21], v[240:241], v[168:169]
	v_add_f64 v[40:41], v[240:241], -v[168:169]
	v_mul_f64 v[62:63], v[34:35], s[34:35]
	v_add_f64 v[0:1], v[244:245], v[0:1]
	v_fma_f64 v[2:3], v[18:19], s[16:17], -v[60:61]
	v_mul_f64 v[44:45], v[22:23], s[22:23]
	v_add_f64 v[28:29], v[242:243], v[170:171]
	v_fma_f64 v[30:31], s[24:25], v[20:21], v[62:63]
	v_mul_f64 v[46:47], v[40:41], s[34:35]
	v_add_f64 v[2:3], v[246:247], v[2:3]
	v_fma_f64 v[4:5], s[20:21], v[16:17], v[44:45]
	v_mul_f64 v[74:75], v[32:33], s[22:23]
	v_add_f64 v[0:1], v[30:31], v[0:1]
	v_fma_f64 v[30:31], v[28:29], s[24:25], -v[46:47]
	v_mul_f64 v[76:77], v[34:35], s[30:31]
	v_add_f64 v[4:5], v[244:245], v[4:5]
	v_fma_f64 v[6:7], v[18:19], s[20:21], -v[74:75]
	v_add_f64 v[2:3], v[30:31], v[2:3]
	v_fma_f64 v[30:31], s[16:17], v[20:21], v[76:77]
	v_mul_f64 v[82:83], v[40:41], s[30:31]
	v_add_f64 v[6:7], v[246:247], v[6:7]
	v_add_f64 v[4:5], v[30:31], v[4:5]
	v_fma_f64 v[30:31], v[28:29], s[16:17], -v[82:83]
	v_add_f64 v[42:43], v[250:251], -v[174:175]
	v_add_f64 v[6:7], v[30:31], v[6:7]
	v_add_f64 v[30:31], v[248:249], v[172:173]
	v_add_f64 v[66:67], v[248:249], -v[172:173]
	v_mul_f64 v[72:73], v[42:43], s[36:37]
	v_add_f64 v[36:37], v[250:251], v[174:175]
	v_fma_f64 v[38:39], s[12:13], v[30:31], v[72:73]
	v_mul_f64 v[78:79], v[66:67], s[36:37]
	v_add_f64 v[0:1], v[38:39], v[0:1]
	v_fma_f64 v[38:39], v[36:37], s[12:13], -v[78:79]
	v_mul_f64 v[84:85], v[42:43], s[4:5]
	v_add_f64 v[2:3], v[38:39], v[2:3]
	v_fma_f64 v[38:39], s[2:3], v[30:31], v[84:85]
	v_mul_f64 v[90:91], v[66:67], s[4:5]
	v_add_f64 v[4:5], v[38:39], v[4:5]
	v_fma_f64 v[38:39], v[36:37], s[2:3], -v[90:91]
	v_add_f64 v[70:71], v[154:155], -v[178:179]
	v_add_f64 v[6:7], v[38:39], v[6:7]
	v_add_f64 v[38:39], v[152:153], v[176:177]
	v_add_f64 v[52:53], v[152:153], -v[176:177]
	v_mul_f64 v[80:81], v[70:71], s[4:5]
	v_add_f64 v[48:49], v[154:155], v[178:179]
	v_fma_f64 v[50:51], s[2:3], v[38:39], v[80:81]
	v_mul_f64 v[86:87], v[52:53], s[4:5]
	v_add_f64 v[0:1], v[50:51], v[0:1]
	v_fma_f64 v[50:51], v[48:49], s[2:3], -v[86:87]
	v_mul_f64 v[92:93], v[70:71], s[28:29]
	v_add_f64 v[2:3], v[50:51], v[2:3]
	v_fma_f64 v[50:51], s[24:25], v[38:39], v[92:93]
	v_mul_f64 v[96:97], v[52:53], s[28:29]
	v_add_f64 v[4:5], v[50:51], v[4:5]
	v_fma_f64 v[50:51], v[48:49], s[24:25], -v[96:97]
	v_add_f64 v[54:55], v[166:167], -v[182:183]
	v_add_f64 v[6:7], v[50:51], v[6:7]
	v_add_f64 v[50:51], v[164:165], v[180:181]
	v_mul_f64 v[88:89], v[54:55], s[22:23]
	v_add_f64 v[56:57], v[164:165], -v[180:181]
	v_fma_f64 v[94:95], s[20:21], v[50:51], v[88:89]
	v_add_f64 v[68:69], v[166:167], v[182:183]
	v_add_f64 v[0:1], v[94:95], v[0:1]
	v_mul_f64 v[94:95], v[56:57], s[22:23]
	v_fma_f64 v[98:99], v[68:69], s[20:21], -v[94:95]
	v_add_f64 v[2:3], v[98:99], v[2:3]
	v_mul_f64 v[98:99], v[54:55], s[36:37]
	v_fma_f64 v[100:101], s[12:13], v[50:51], v[98:99]
	v_add_f64 v[4:5], v[100:101], v[4:5]
	v_mul_f64 v[100:101], v[56:57], s[36:37]
	v_fma_f64 v[138:139], v[68:69], s[12:13], -v[100:101]
	v_add_f64 v[6:7], v[138:139], v[6:7]
	s_barrier
	ds_write_b128 v159, v[24:27]
	ds_write_b128 v159, v[8:11] offset:16
	ds_write_b128 v159, v[106:109] offset:32
	;; [unrolled: 1-line block ×10, first 2 shown]
	s_and_saveexec_b64 s[38:39], vcc
	s_cbranch_execz .LBB0_17
; %bb.16:
	v_mul_f64 v[24:25], v[16:17], s[20:21]
	v_mul_f64 v[26:27], v[18:19], s[20:21]
	;; [unrolled: 1-line block ×3, first 2 shown]
	v_add_f64 v[24:25], v[24:25], -v[44:45]
	v_mul_f64 v[108:109], v[18:19], s[16:17]
	v_mul_f64 v[116:117], v[28:29], s[16:17]
	;; [unrolled: 1-line block ×3, first 2 shown]
	v_add_f64 v[26:27], v[74:75], v[26:27]
	v_add_f64 v[76:77], v[114:115], -v[76:77]
	v_add_f64 v[24:25], v[244:245], v[24:25]
	v_mul_f64 v[112:113], v[28:29], s[24:25]
	v_mul_f64 v[130:131], v[38:39], s[24:25]
	v_add_f64 v[82:83], v[82:83], v[116:117]
	v_add_f64 v[26:27], v[246:247], v[26:27]
	v_add_f64 v[84:85], v[122:123], -v[84:85]
	v_add_f64 v[24:25], v[76:77], v[24:25]
	v_add_f64 v[60:61], v[60:61], v[108:109]
	v_mul_f64 v[106:107], v[16:17], s[16:17]
	v_mul_f64 v[120:121], v[36:37], s[12:13]
	;; [unrolled: 1-line block ×3, first 2 shown]
	v_add_f64 v[26:27], v[82:83], v[26:27]
	v_add_f64 v[82:83], v[130:131], -v[92:93]
	v_add_f64 v[24:25], v[84:85], v[24:25]
	v_add_f64 v[46:47], v[46:47], v[112:113]
	v_add_f64 v[60:61], v[246:247], v[60:61]
	v_mul_f64 v[110:111], v[20:21], s[24:25]
	v_mul_f64 v[128:129], v[48:49], s[2:3]
	v_add_f64 v[74:75], v[138:139], -v[98:99]
	v_add_f64 v[24:25], v[82:83], v[24:25]
	v_add_f64 v[76:77], v[78:79], v[120:121]
	;; [unrolled: 1-line block ×3, first 2 shown]
	v_add_f64 v[58:59], v[106:107], -v[58:59]
	v_mul_f64 v[82:83], v[32:33], s[14:15]
	v_mul_f64 v[118:119], v[30:31], s[12:13]
	;; [unrolled: 1-line block ×3, first 2 shown]
	v_add_f64 v[24:25], v[74:75], v[24:25]
	v_add_f64 v[74:75], v[86:87], v[128:129]
	;; [unrolled: 1-line block ×3, first 2 shown]
	v_add_f64 v[62:63], v[110:111], -v[62:63]
	v_add_f64 v[58:59], v[244:245], v[58:59]
	v_mul_f64 v[78:79], v[40:41], s[22:23]
	v_fma_f64 v[84:85], s[12:13], v[18:19], v[82:83]
	v_fma_f64 v[82:83], v[18:19], s[12:13], -v[82:83]
	v_mul_f64 v[124:125], v[36:37], s[2:3]
	v_mul_f64 v[136:137], v[68:69], s[20:21]
	v_add_f64 v[46:47], v[74:75], v[46:47]
	v_add_f64 v[60:61], v[126:127], -v[80:81]
	v_add_f64 v[72:73], v[118:119], -v[72:73]
	v_add_f64 v[58:59], v[62:63], v[58:59]
	v_mul_f64 v[74:75], v[66:67], s[34:35]
	v_fma_f64 v[80:81], s[20:21], v[28:29], v[78:79]
	v_fma_f64 v[78:79], v[28:29], s[20:21], -v[78:79]
	v_add_f64 v[82:83], v[246:247], v[82:83]
	v_mul_f64 v[132:133], v[48:49], s[24:25]
	v_mul_f64 v[134:135], v[50:51], s[20:21]
	v_add_f64 v[90:91], v[90:91], v[124:125]
	v_add_f64 v[44:45], v[94:95], v[136:137]
	;; [unrolled: 1-line block ×3, first 2 shown]
	v_mul_f64 v[72:73], v[52:53], s[30:31]
	v_fma_f64 v[76:77], s[24:25], v[36:37], v[74:75]
	v_fma_f64 v[74:75], v[36:37], s[24:25], -v[74:75]
	v_add_f64 v[78:79], v[78:79], v[82:83]
	v_add_f64 v[96:97], v[96:97], v[132:133]
	;; [unrolled: 1-line block ×4, first 2 shown]
	v_add_f64 v[44:45], v[134:135], -v[88:89]
	v_add_f64 v[58:59], v[60:61], v[58:59]
	v_mul_f64 v[62:63], v[56:57], s[26:27]
	v_fma_f64 v[60:61], s[16:17], v[48:49], v[72:73]
	v_mul_f64 v[94:95], v[22:23], s[14:15]
	v_fma_f64 v[72:73], v[48:49], s[16:17], -v[72:73]
	v_add_f64 v[74:75], v[74:75], v[78:79]
	v_add_f64 v[26:27], v[96:97], v[26:27]
	;; [unrolled: 1-line block ×3, first 2 shown]
	v_fma_f64 v[58:59], s[2:3], v[68:69], v[62:63]
	v_add_f64 v[84:85], v[246:247], v[84:85]
	v_mul_f64 v[90:91], v[34:35], s[22:23]
	v_fma_f64 v[96:97], v[16:17], s[12:13], -v[94:95]
	v_fma_f64 v[62:63], v[68:69], s[2:3], -v[62:63]
	v_add_f64 v[72:73], v[72:73], v[74:75]
	v_fmac_f64_e32 v[94:95], s[12:13], v[16:17]
	v_add_f64 v[80:81], v[80:81], v[84:85]
	v_mul_f64 v[86:87], v[42:43], s[34:35]
	v_fma_f64 v[92:93], v[20:21], s[20:21], -v[90:91]
	v_add_f64 v[74:75], v[62:63], v[72:73]
	v_fmac_f64_e32 v[90:91], s[20:21], v[20:21]
	v_add_f64 v[62:63], v[244:245], v[94:95]
	v_accvgpr_write_b32 a128, v148
	v_mul_f64 v[148:149], v[32:33], s[28:29]
	v_add_f64 v[76:77], v[76:77], v[80:81]
	v_mul_f64 v[80:81], v[70:71], s[30:31]
	v_fma_f64 v[88:89], v[30:31], s[24:25], -v[86:87]
	v_fmac_f64_e32 v[86:87], s[24:25], v[30:31]
	v_add_f64 v[62:63], v[90:91], v[62:63]
	v_mul_f64 v[32:33], v[32:33], s[4:5]
	v_accvgpr_write_b32 a129, v144
	v_accvgpr_write_b32 a182, v145
	v_mul_f64 v[144:145], v[40:41], s[26:27]
	v_fma_f64 v[84:85], v[38:39], s[16:17], -v[80:81]
	v_fmac_f64_e32 v[80:81], s[16:17], v[38:39]
	v_add_f64 v[62:63], v[86:87], v[62:63]
	v_mul_f64 v[40:41], v[40:41], s[14:15]
	v_fma_f64 v[82:83], s[2:3], v[18:19], v[32:33]
	v_mov_b32_e32 v159, v160
	v_accvgpr_write_b32 a84, v161
	v_mul_f64 v[160:161], v[34:35], s[26:27]
	v_add_f64 v[62:63], v[80:81], v[62:63]
	v_fma_f64 v[80:81], s[12:13], v[28:29], v[40:41]
	v_add_f64 v[82:83], v[246:247], v[82:83]
	v_mul_f64 v[34:35], v[34:35], s[14:15]
	v_accvgpr_write_b32 a85, v162
	v_accvgpr_write_b32 a86, v163
	v_fma_f64 v[162:163], v[20:21], s[2:3], -v[160:161]
	v_accvgpr_write_b32 a48, v188
	v_fmac_f64_e32 v[160:161], s[2:3], v[20:21]
	v_add_f64 v[80:81], v[80:81], v[82:83]
	v_fma_f64 v[82:83], v[20:21], s[12:13], -v[34:35]
	v_fmac_f64_e32 v[34:35], s[12:13], v[20:21]
	v_add_f64 v[20:21], v[246:247], v[254:255]
	v_accvgpr_write_b32 a49, v189
	v_accvgpr_write_b32 a50, v190
	;; [unrolled: 1-line block ×3, first 2 shown]
	v_pk_mov_b32 v[190:191], v[170:171], v[170:171] op_sel:[0,1]
	v_add_f64 v[20:21], v[20:21], v[242:243]
	v_pk_mov_b32 v[188:189], v[168:169], v[168:169] op_sel:[0,1]
	v_pk_mov_b32 v[170:171], v[166:167], v[166:167] op_sel:[0,1]
	v_add_f64 v[20:21], v[20:21], v[250:251]
	v_fma_f64 v[150:151], s[24:25], v[18:19], v[148:149]
	v_pk_mov_b32 v[168:169], v[164:165], v[164:165] op_sel:[0,1]
	v_mul_f64 v[164:165], v[22:23], s[28:29]
	v_add_f64 v[20:21], v[20:21], v[154:155]
	v_accvgpr_write_b32 a130, v140
	v_accvgpr_write_b32 a131, v141
	v_mul_f64 v[140:141], v[66:67], s[22:23]
	v_fma_f64 v[146:147], s[2:3], v[28:29], v[144:145]
	v_add_f64 v[150:151], v[246:247], v[150:151]
	v_fma_f64 v[166:167], v[16:17], s[24:25], -v[164:165]
	v_add_f64 v[96:97], v[244:245], v[96:97]
	v_add_f64 v[20:21], v[20:21], v[170:171]
	v_mul_f64 v[14:15], v[52:53], s[36:37]
	v_accvgpr_write_b32 a180, v142
	v_accvgpr_write_b32 a181, v143
	v_fma_f64 v[142:143], s[20:21], v[36:37], v[140:141]
	v_add_f64 v[146:147], v[146:147], v[150:151]
	v_accvgpr_write_b32 a80, v102
	v_accvgpr_write_b32 a81, v103
	v_mul_f64 v[102:103], v[42:43], s[22:23]
	v_add_f64 v[166:167], v[244:245], v[166:167]
	v_add_f64 v[92:93], v[92:93], v[96:97]
	;; [unrolled: 1-line block ×3, first 2 shown]
	v_mul_f64 v[12:13], v[56:57], s[18:19]
	v_fma_f64 v[10:11], s[12:13], v[48:49], v[14:15]
	v_add_f64 v[142:143], v[142:143], v[146:147]
	v_mul_f64 v[146:147], v[70:71], s[36:37]
	v_accvgpr_write_b32 a82, v104
	v_accvgpr_write_b32 a83, v105
	v_fma_f64 v[104:105], v[30:31], s[20:21], -v[102:103]
	v_add_f64 v[162:163], v[162:163], v[166:167]
	v_add_f64 v[60:61], v[60:61], v[76:77]
	v_mul_f64 v[76:77], v[54:55], s[26:27]
	v_add_f64 v[88:89], v[88:89], v[92:93]
	v_add_f64 v[20:21], v[20:21], v[178:179]
	v_fma_f64 v[8:9], s[16:17], v[68:69], v[12:13]
	v_add_f64 v[10:11], v[10:11], v[142:143]
	v_mul_f64 v[142:143], v[54:55], s[18:19]
	v_fma_f64 v[150:151], v[38:39], s[12:13], -v[146:147]
	v_add_f64 v[104:105], v[104:105], v[162:163]
	v_add_f64 v[60:61], v[58:59], v[60:61]
	v_fma_f64 v[58:59], v[50:51], s[2:3], -v[76:77]
	v_add_f64 v[84:85], v[84:85], v[88:89]
	v_mul_f64 v[22:23], v[22:23], s[4:5]
	v_add_f64 v[20:21], v[20:21], v[174:175]
	v_add_f64 v[10:11], v[8:9], v[10:11]
	v_fma_f64 v[8:9], v[50:51], s[16:17], -v[142:143]
	v_add_f64 v[104:105], v[150:151], v[104:105]
	v_add_f64 v[58:59], v[58:59], v[84:85]
	v_fma_f64 v[84:85], v[16:17], s[2:3], -v[22:23]
	v_fmac_f64_e32 v[22:23], s[2:3], v[16:17]
	v_add_f64 v[20:21], v[20:21], v[190:191]
	v_add_f64 v[8:9], v[8:9], v[104:105]
	v_fma_f64 v[104:105], v[36:37], s[20:21], -v[140:141]
	v_fma_f64 v[140:141], v[28:29], s[2:3], -v[144:145]
	;; [unrolled: 1-line block ×3, first 2 shown]
	v_fmac_f64_e32 v[164:165], s[24:25], v[16:17]
	v_add_f64 v[16:17], v[244:245], v[22:23]
	v_add_f64 v[22:23], v[20:21], v[186:187]
	v_add_f64 v[20:21], v[244:245], v[252:253]
	v_add_f64 v[144:145], v[246:247], v[144:145]
	v_add_f64 v[20:21], v[20:21], v[240:241]
	v_add_f64 v[140:141], v[140:141], v[144:145]
	v_add_f64 v[20:21], v[20:21], v[248:249]
	v_fma_f64 v[14:15], v[48:49], s[12:13], -v[14:15]
	v_add_f64 v[104:105], v[104:105], v[140:141]
	v_add_f64 v[20:21], v[20:21], v[152:153]
	v_fma_f64 v[12:13], v[68:69], s[16:17], -v[12:13]
	v_add_f64 v[14:15], v[14:15], v[104:105]
	v_mul_f64 v[66:67], v[66:67], s[18:19]
	v_add_f64 v[20:21], v[20:21], v[168:169]
	v_add_f64 v[14:15], v[12:13], v[14:15]
	;; [unrolled: 1-line block ×3, first 2 shown]
	v_fmac_f64_e32 v[76:77], s[2:3], v[50:51]
	v_mul_f64 v[52:53], v[52:53], s[22:23]
	v_fma_f64 v[78:79], s[16:17], v[36:37], v[66:67]
	v_fma_f64 v[18:19], v[18:19], s[2:3], -v[32:33]
	v_add_f64 v[20:21], v[20:21], v[180:181]
	v_fmac_f64_e32 v[102:103], s[20:21], v[30:31]
	v_add_f64 v[12:13], v[160:161], v[12:13]
	v_add_f64 v[72:73], v[76:77], v[62:63]
	v_mul_f64 v[62:63], v[56:57], s[28:29]
	v_fma_f64 v[76:77], s[20:21], v[48:49], v[52:53]
	v_add_f64 v[78:79], v[78:79], v[80:81]
	v_mul_f64 v[42:43], v[42:43], s[18:19]
	v_add_f64 v[84:85], v[244:245], v[84:85]
	v_fma_f64 v[28:29], v[28:29], s[12:13], -v[40:41]
	v_add_f64 v[18:19], v[246:247], v[18:19]
	v_add_f64 v[20:21], v[20:21], v[176:177]
	v_fmac_f64_e32 v[146:147], s[12:13], v[38:39]
	v_add_f64 v[12:13], v[102:103], v[12:13]
	v_fma_f64 v[56:57], s[24:25], v[68:69], v[62:63]
	v_add_f64 v[76:77], v[76:77], v[78:79]
	v_mul_f64 v[70:71], v[70:71], s[22:23]
	v_fma_f64 v[80:81], v[30:31], s[16:17], -v[42:43]
	v_add_f64 v[82:83], v[82:83], v[84:85]
	v_fma_f64 v[36:37], v[36:37], s[16:17], -v[66:67]
	v_add_f64 v[18:19], v[28:29], v[18:19]
	v_fmac_f64_e32 v[42:43], s[16:17], v[30:31]
	v_add_f64 v[16:17], v[34:35], v[16:17]
	v_add_f64 v[20:21], v[20:21], v[172:173]
	v_accvgpr_write_b32 a1, v156
	v_accvgpr_write_b32 a3, v157
	v_mul_f64 v[156:157], v[68:69], s[12:13]
	v_fmac_f64_e32 v[142:143], s[16:17], v[50:51]
	v_add_f64 v[12:13], v[146:147], v[12:13]
	v_add_f64 v[56:57], v[56:57], v[76:77]
	v_mul_f64 v[76:77], v[54:55], s[28:29]
	v_fma_f64 v[78:79], v[38:39], s[20:21], -v[70:71]
	v_add_f64 v[80:81], v[80:81], v[82:83]
	v_fma_f64 v[48:49], v[48:49], s[20:21], -v[52:53]
	v_add_f64 v[18:19], v[36:37], v[18:19]
	v_fmac_f64_e32 v[70:71], s[20:21], v[38:39]
	v_add_f64 v[16:17], v[42:43], v[16:17]
	v_add_f64 v[20:21], v[20:21], v[188:189]
	v_accvgpr_read_b32 v191, a51
	v_accvgpr_read_b32 v163, a86
	v_accvgpr_read_b32 v162, a85
	v_accvgpr_read_b32 v148, a128
	v_accvgpr_read_b32 v145, a182
	v_accvgpr_read_b32 v144, a129
	v_accvgpr_read_b32 v141, a131
	v_accvgpr_read_b32 v140, a130
	v_accvgpr_read_b32 v105, a83
	v_accvgpr_read_b32 v104, a82
	v_accvgpr_read_b32 v161, a84
	v_accvgpr_read_b32 v103, a81
	v_accvgpr_read_b32 v102, a80
	v_add_f64 v[12:13], v[142:143], v[12:13]
	v_accvgpr_read_b32 v143, a181
	v_accvgpr_read_b32 v142, a180
	v_add_f64 v[100:101], v[100:101], v[156:157]
	v_accvgpr_read_b32 v157, a3
	v_accvgpr_read_b32 v156, a1
	v_fma_f64 v[54:55], v[50:51], s[24:25], -v[76:77]
	v_add_f64 v[78:79], v[78:79], v[80:81]
	v_fma_f64 v[62:63], v[68:69], s[24:25], -v[62:63]
	v_add_f64 v[18:19], v[48:49], v[18:19]
	v_fmac_f64_e32 v[76:77], s[24:25], v[50:51]
	v_add_f64 v[16:17], v[70:71], v[16:17]
	v_accvgpr_read_b32 v190, a50
	v_accvgpr_read_b32 v189, a49
	;; [unrolled: 1-line block ×3, first 2 shown]
	v_add_f64 v[20:21], v[20:21], v[184:185]
	v_lshlrev_b32_e32 v28, 4, v159
	v_add_f64 v[26:27], v[100:101], v[26:27]
	v_add_f64 v[54:55], v[54:55], v[78:79]
	;; [unrolled: 1-line block ×4, first 2 shown]
	ds_write_b128 v28, v[20:23]
	ds_write_b128 v28, v[16:19] offset:16
	ds_write_b128 v28, v[72:75] offset:32
	;; [unrolled: 1-line block ×10, first 2 shown]
.LBB0_17:
	s_or_b64 exec, exec, s[38:39]
	s_waitcnt lgkmcnt(0)
	s_barrier
	ds_read_b128 v[32:35], v158
	ds_read_b128 v[28:31], v158 offset:1760
	ds_read_b128 v[56:59], v158 offset:14960
	;; [unrolled: 1-line block ×13, first 2 shown]
	s_and_saveexec_b64 s[2:3], s[0:1]
	s_cbranch_execz .LBB0_19
; %bb.18:
	ds_read_b128 v[0:3], v158 offset:12320
	ds_read_b128 v[4:7], v158 offset:25520
.LBB0_19:
	s_or_b64 exec, exec, s[2:3]
	v_accvgpr_read_b32 v71, a67
	v_accvgpr_read_b32 v70, a66
	;; [unrolled: 1-line block ×4, first 2 shown]
	s_waitcnt lgkmcnt(3)
	v_mul_f64 v[66:67], v[70:71], v[62:63]
	v_fmac_f64_e32 v[66:67], v[68:69], v[60:61]
	v_mul_f64 v[60:61], v[70:71], v[60:61]
	v_fma_f64 v[60:61], v[68:69], v[62:63], -v[60:61]
	v_accvgpr_read_b32 v71, a63
	v_accvgpr_read_b32 v70, a62
	v_accvgpr_read_b32 v69, a61
	v_accvgpr_read_b32 v68, a60
	v_mul_f64 v[62:63], v[70:71], v[58:59]
	v_fmac_f64_e32 v[62:63], v[68:69], v[56:57]
	v_mul_f64 v[56:57], v[70:71], v[56:57]
	v_fma_f64 v[56:57], v[68:69], v[58:59], -v[56:57]
	v_accvgpr_read_b32 v71, a59
	v_accvgpr_read_b32 v70, a58
	v_accvgpr_read_b32 v69, a57
	v_accvgpr_read_b32 v68, a56
	;; [unrolled: 8-line block ×3, first 2 shown]
	v_mul_f64 v[54:55], v[70:71], v[50:51]
	v_fmac_f64_e32 v[54:55], v[68:69], v[48:49]
	v_mul_f64 v[48:49], v[70:71], v[48:49]
	v_accvgpr_read_b32 v70, a72
	v_accvgpr_read_b32 v72, a74
	;; [unrolled: 1-line block ×3, first 2 shown]
	v_fma_f64 v[50:51], v[68:69], v[50:51], -v[48:49]
	v_accvgpr_read_b32 v71, a73
	v_mul_f64 v[68:69], v[72:73], v[42:43]
	v_accvgpr_read_b32 v77, a71
	v_fmac_f64_e32 v[68:69], v[70:71], v[40:41]
	v_mul_f64 v[40:41], v[72:73], v[40:41]
	v_accvgpr_read_b32 v76, a70
	v_fma_f64 v[70:71], v[70:71], v[42:43], -v[40:41]
	v_accvgpr_read_b32 v75, a69
	v_accvgpr_read_b32 v74, a68
	s_waitcnt lgkmcnt(1)
	v_mul_f64 v[72:73], v[76:77], v[46:47]
	v_mul_f64 v[40:41], v[76:77], v[44:45]
	v_fmac_f64_e32 v[72:73], v[74:75], v[44:45]
	v_fma_f64 v[74:75], v[74:75], v[46:47], -v[40:41]
	v_accvgpr_read_b32 v40, a76
	v_accvgpr_read_b32 v42, a78
	;; [unrolled: 1-line block ×4, first 2 shown]
	s_waitcnt lgkmcnt(0)
	v_mul_f64 v[76:77], v[42:43], v[38:39]
	v_fmac_f64_e32 v[76:77], v[40:41], v[36:37]
	v_mul_f64 v[36:37], v[42:43], v[36:37]
	v_fma_f64 v[78:79], v[40:41], v[38:39], -v[36:37]
	v_add_f64 v[36:37], v[32:33], -v[66:67]
	v_add_f64 v[38:39], v[34:35], -v[60:61]
	v_fma_f64 v[32:33], v[32:33], 2.0, -v[36:37]
	v_fma_f64 v[34:35], v[34:35], 2.0, -v[38:39]
	v_add_f64 v[40:41], v[28:29], -v[62:63]
	v_add_f64 v[42:43], v[30:31], -v[56:57]
	;; [unrolled: 1-line block ×12, first 2 shown]
	v_fma_f64 v[28:29], v[28:29], 2.0, -v[40:41]
	v_fma_f64 v[30:31], v[30:31], 2.0, -v[42:43]
	v_fma_f64 v[24:25], v[24:25], 2.0, -v[44:45]
	v_fma_f64 v[26:27], v[26:27], 2.0, -v[46:47]
	v_fma_f64 v[20:21], v[20:21], 2.0, -v[48:49]
	v_fma_f64 v[22:23], v[22:23], 2.0, -v[50:51]
	v_fma_f64 v[16:17], v[16:17], 2.0, -v[52:53]
	v_fma_f64 v[18:19], v[18:19], 2.0, -v[54:55]
	v_fma_f64 v[12:13], v[12:13], 2.0, -v[56:57]
	v_fma_f64 v[14:15], v[14:15], 2.0, -v[58:59]
	v_fma_f64 v[8:9], v[8:9], 2.0, -v[60:61]
	v_fma_f64 v[10:11], v[10:11], 2.0, -v[62:63]
	s_barrier
	ds_write_b128 v102, v[32:35]
	ds_write_b128 v102, v[36:39] offset:176
	ds_write_b128 v103, v[28:31]
	ds_write_b128 v103, v[40:43] offset:176
	;; [unrolled: 2-line block ×7, first 2 shown]
	s_and_saveexec_b64 s[2:3], s[0:1]
	s_cbranch_execz .LBB0_21
; %bb.20:
	v_mul_f64 v[8:9], v[190:191], v[4:5]
	v_fma_f64 v[8:9], v[188:189], v[6:7], -v[8:9]
	v_mul_f64 v[6:7], v[190:191], v[6:7]
	v_fmac_f64_e32 v[6:7], v[188:189], v[4:5]
	v_add_f64 v[8:9], v[2:3], -v[8:9]
	v_add_f64 v[6:7], v[0:1], -v[6:7]
	v_mad_legacy_u16 v4, v156, 22, v157
	v_fma_f64 v[2:3], v[2:3], 2.0, -v[8:9]
	v_fma_f64 v[0:1], v[0:1], 2.0, -v[6:7]
	v_lshlrev_b32_e32 v4, 4, v4
	ds_write_b128 v4, v[0:3]
	ds_write_b128 v4, v[6:9] offset:176
.LBB0_21:
	s_or_b64 exec, exec, s[2:3]
	v_accvgpr_read_b32 v54, a92
	v_accvgpr_read_b32 v56, a94
	;; [unrolled: 1-line block ×3, first 2 shown]
	s_waitcnt lgkmcnt(0)
	s_barrier
	ds_read_b128 v[20:23], v158 offset:8800
	ds_read_b128 v[0:3], v158
	ds_read_b128 v[4:7], v158 offset:1760
	ds_read_b128 v[24:27], v158 offset:17600
	;; [unrolled: 1-line block ×10, first 2 shown]
	v_accvgpr_read_b32 v55, a93
	s_waitcnt lgkmcnt(11)
	v_mul_f64 v[52:53], v[56:57], v[22:23]
	v_accvgpr_read_b32 v58, a88
	v_accvgpr_read_b32 v66, a100
	v_fmac_f64_e32 v[52:53], v[54:55], v[20:21]
	v_mul_f64 v[20:21], v[56:57], v[20:21]
	v_accvgpr_read_b32 v60, a90
	v_accvgpr_read_b32 v61, a91
	;; [unrolled: 1-line block ×4, first 2 shown]
	v_fma_f64 v[54:55], v[54:55], v[22:23], -v[20:21]
	s_waitcnt lgkmcnt(8)
	v_mul_f64 v[56:57], v[60:61], v[26:27]
	v_mul_f64 v[20:21], v[60:61], v[24:25]
	v_accvgpr_read_b32 v67, a101
	s_waitcnt lgkmcnt(6)
	v_mul_f64 v[60:61], v[68:69], v[38:39]
	v_fmac_f64_e32 v[60:61], v[66:67], v[36:37]
	v_mul_f64 v[36:37], v[68:69], v[36:37]
	v_accvgpr_read_b32 v68, a96
	v_accvgpr_read_b32 v70, a98
	;; [unrolled: 1-line block ×3, first 2 shown]
	v_fma_f64 v[62:63], v[66:67], v[38:39], -v[36:37]
	v_accvgpr_read_b32 v69, a97
	v_mul_f64 v[66:67], v[70:71], v[34:35]
	v_accvgpr_read_b32 v72, a108
	v_fmac_f64_e32 v[66:67], v[68:69], v[32:33]
	v_mul_f64 v[32:33], v[70:71], v[32:33]
	v_accvgpr_read_b32 v74, a110
	v_accvgpr_read_b32 v75, a111
	v_fma_f64 v[68:69], v[68:69], v[34:35], -v[32:33]
	v_accvgpr_read_b32 v73, a109
	s_waitcnt lgkmcnt(5)
	v_mul_f64 v[70:71], v[74:75], v[42:43]
	v_mul_f64 v[32:33], v[74:75], v[40:41]
	v_accvgpr_read_b32 v59, a89
	v_fmac_f64_e32 v[70:71], v[72:73], v[40:41]
	v_fma_f64 v[72:73], v[72:73], v[42:43], -v[32:33]
	v_accvgpr_read_b32 v40, a104
	v_fmac_f64_e32 v[56:57], v[58:59], v[24:25]
	v_fma_f64 v[58:59], v[58:59], v[26:27], -v[20:21]
	ds_read_b128 v[20:23], v158 offset:14080
	ds_read_b128 v[24:27], v158 offset:15840
	v_accvgpr_read_b32 v42, a106
	v_accvgpr_read_b32 v43, a107
	;; [unrolled: 1-line block ×3, first 2 shown]
	s_waitcnt lgkmcnt(4)
	v_mul_f64 v[32:33], v[42:43], v[44:45]
	v_mul_f64 v[74:75], v[42:43], v[46:47]
	v_fma_f64 v[46:47], v[40:41], v[46:47], -v[32:33]
	v_accvgpr_read_b32 v32, a116
	v_accvgpr_read_b32 v34, a118
	;; [unrolled: 1-line block ×4, first 2 shown]
	s_waitcnt lgkmcnt(1)
	v_mul_f64 v[76:77], v[34:35], v[22:23]
	v_fmac_f64_e32 v[76:77], v[32:33], v[20:21]
	v_mul_f64 v[20:21], v[34:35], v[20:21]
	v_fma_f64 v[78:79], v[32:33], v[22:23], -v[20:21]
	v_accvgpr_read_b32 v32, a112
	v_accvgpr_read_b32 v34, a114
	;; [unrolled: 1-line block ×4, first 2 shown]
	v_mul_f64 v[80:81], v[34:35], v[50:51]
	v_mul_f64 v[20:21], v[34:35], v[48:49]
	ds_read_b128 v[36:39], v158 offset:24640
	v_fmac_f64_e32 v[80:81], v[32:33], v[48:49]
	v_fma_f64 v[82:83], v[32:33], v[50:51], -v[20:21]
	v_accvgpr_read_b32 v32, a124
	v_accvgpr_read_b32 v34, a126
	;; [unrolled: 1-line block ×4, first 2 shown]
	s_waitcnt lgkmcnt(1)
	v_mul_f64 v[84:85], v[34:35], v[26:27]
	v_fmac_f64_e32 v[84:85], v[32:33], v[24:25]
	v_mul_f64 v[20:21], v[34:35], v[24:25]
	v_accvgpr_read_b32 v22, a120
	v_accvgpr_read_b32 v98, a2
	;; [unrolled: 1-line block ×4, first 2 shown]
	v_mad_u64_u32 v[28:29], s[0:1], s10, v98, 0
	v_fma_f64 v[86:87], v[32:33], v[26:27], -v[20:21]
	v_accvgpr_read_b32 v23, a121
	s_waitcnt lgkmcnt(0)
	v_mul_f64 v[88:89], v[24:25], v[38:39]
	v_mul_f64 v[20:21], v[24:25], v[36:37]
	v_fmac_f64_e32 v[88:89], v[22:23], v[36:37]
	v_fma_f64 v[90:91], v[22:23], v[38:39], -v[20:21]
	v_add_f64 v[22:23], v[52:53], v[56:57]
	s_mov_b32 s0, 0xe8584caa
	v_add_f64 v[20:21], v[0:1], v[52:53]
	v_fmac_f64_e32 v[0:1], -0.5, v[22:23]
	v_add_f64 v[22:23], v[54:55], -v[58:59]
	s_mov_b32 s1, 0xbfebb67a
	s_mov_b32 s3, 0x3febb67a
	;; [unrolled: 1-line block ×3, first 2 shown]
	v_add_f64 v[26:27], v[54:55], v[58:59]
	v_fma_f64 v[24:25], s[0:1], v[22:23], v[0:1]
	v_fmac_f64_e32 v[0:1], s[2:3], v[22:23]
	v_add_f64 v[22:23], v[2:3], v[54:55]
	v_fmac_f64_e32 v[2:3], -0.5, v[26:27]
	v_add_f64 v[32:33], v[52:53], -v[56:57]
	v_add_f64 v[34:35], v[60:61], v[66:67]
	v_fmac_f64_e32 v[74:75], v[40:41], v[44:45]
	v_fma_f64 v[26:27], s[2:3], v[32:33], v[2:3]
	v_fmac_f64_e32 v[2:3], s[0:1], v[32:33]
	v_add_f64 v[32:33], v[4:5], v[60:61]
	v_fmac_f64_e32 v[4:5], -0.5, v[34:35]
	v_add_f64 v[34:35], v[62:63], -v[68:69]
	v_add_f64 v[38:39], v[62:63], v[68:69]
	v_fma_f64 v[36:37], s[0:1], v[34:35], v[4:5]
	v_fmac_f64_e32 v[4:5], s[2:3], v[34:35]
	v_add_f64 v[34:35], v[6:7], v[62:63]
	v_fmac_f64_e32 v[6:7], -0.5, v[38:39]
	v_add_f64 v[40:41], v[60:61], -v[66:67]
	v_add_f64 v[42:43], v[70:71], v[74:75]
	v_fma_f64 v[38:39], s[2:3], v[40:41], v[6:7]
	v_fmac_f64_e32 v[6:7], s[0:1], v[40:41]
	v_add_f64 v[40:41], v[8:9], v[70:71]
	v_fmac_f64_e32 v[8:9], -0.5, v[42:43]
	v_add_f64 v[42:43], v[72:73], -v[46:47]
	v_fma_f64 v[44:45], s[0:1], v[42:43], v[8:9]
	v_fmac_f64_e32 v[8:9], s[2:3], v[42:43]
	v_add_f64 v[42:43], v[10:11], v[72:73]
	v_add_f64 v[42:43], v[42:43], v[46:47]
	;; [unrolled: 1-line block ×3, first 2 shown]
	v_fmac_f64_e32 v[10:11], -0.5, v[46:47]
	v_add_f64 v[48:49], v[70:71], -v[74:75]
	v_add_f64 v[50:51], v[76:77], v[80:81]
	v_fma_f64 v[46:47], s[2:3], v[48:49], v[10:11]
	v_fmac_f64_e32 v[10:11], s[0:1], v[48:49]
	v_add_f64 v[48:49], v[12:13], v[76:77]
	v_fmac_f64_e32 v[12:13], -0.5, v[50:51]
	v_add_f64 v[50:51], v[78:79], -v[82:83]
	v_add_f64 v[54:55], v[78:79], v[82:83]
	v_add_f64 v[20:21], v[20:21], v[56:57]
	;; [unrolled: 1-line block ×3, first 2 shown]
	v_fma_f64 v[52:53], s[0:1], v[50:51], v[12:13]
	v_fmac_f64_e32 v[12:13], s[2:3], v[50:51]
	v_add_f64 v[50:51], v[14:15], v[78:79]
	v_fmac_f64_e32 v[14:15], -0.5, v[54:55]
	v_add_f64 v[56:57], v[76:77], -v[80:81]
	v_add_f64 v[58:59], v[84:85], v[88:89]
	v_fma_f64 v[54:55], s[2:3], v[56:57], v[14:15]
	v_fmac_f64_e32 v[14:15], s[0:1], v[56:57]
	v_add_f64 v[56:57], v[16:17], v[84:85]
	v_fmac_f64_e32 v[16:17], -0.5, v[58:59]
	v_add_f64 v[58:59], v[86:87], -v[90:91]
	v_add_f64 v[62:63], v[86:87], v[90:91]
	v_add_f64 v[32:33], v[32:33], v[66:67]
	v_fma_f64 v[60:61], s[0:1], v[58:59], v[16:17]
	v_fmac_f64_e32 v[16:17], s[2:3], v[58:59]
	v_add_f64 v[58:59], v[18:19], v[86:87]
	v_fmac_f64_e32 v[18:19], -0.5, v[62:63]
	v_add_f64 v[66:67], v[84:85], -v[88:89]
	v_accvgpr_read_b32 v70, a144
	v_mov_b32_e32 v30, v29
	v_add_f64 v[34:35], v[34:35], v[68:69]
	v_add_f64 v[48:49], v[48:49], v[80:81]
	v_add_f64 v[50:51], v[50:51], v[82:83]
	v_add_f64 v[56:57], v[56:57], v[88:89]
	v_add_f64 v[58:59], v[58:59], v[90:91]
	v_fma_f64 v[62:63], s[2:3], v[66:67], v[18:19]
	v_fmac_f64_e32 v[18:19], s[0:1], v[66:67]
	v_accvgpr_read_b32 v29, a87
	v_accvgpr_read_b32 v72, a146
	;; [unrolled: 1-line block ×3, first 2 shown]
	v_add_f64 v[40:41], v[40:41], v[74:75]
	s_barrier
	ds_write_b128 v29, v[20:23]
	ds_write_b128 v29, v[24:27] offset:352
	ds_write_b128 v29, v[0:3] offset:704
	ds_write_b128 v148, v[32:35]
	ds_write_b128 v148, v[36:39] offset:352
	ds_write_b128 v148, v[4:7] offset:704
	;; [unrolled: 3-line block ×5, first 2 shown]
	s_waitcnt lgkmcnt(0)
	s_barrier
	ds_read_b128 v[0:3], v158
	ds_read_b128 v[4:7], v158 offset:1760
	ds_read_b128 v[12:15], v158 offset:10560
	;; [unrolled: 1-line block ×14, first 2 shown]
	v_accvgpr_read_b32 v71, a145
	s_waitcnt lgkmcnt(8)
	v_mul_f64 v[62:63], v[72:73], v[34:35]
	v_fmac_f64_e32 v[62:63], v[70:71], v[32:33]
	v_mul_f64 v[32:33], v[72:73], v[32:33]
	v_fma_f64 v[70:71], v[70:71], v[34:35], -v[32:33]
	v_accvgpr_read_b32 v32, a140
	v_accvgpr_read_b32 v34, a142
	;; [unrolled: 1-line block ×4, first 2 shown]
	v_mul_f64 v[72:73], v[34:35], v[14:15]
	v_fmac_f64_e32 v[72:73], v[32:33], v[12:13]
	v_mul_f64 v[12:13], v[34:35], v[12:13]
	v_fma_f64 v[74:75], v[32:33], v[14:15], -v[12:13]
	v_accvgpr_read_b32 v32, a136
	v_accvgpr_read_b32 v34, a138
	;; [unrolled: 1-line block ×4, first 2 shown]
	s_waitcnt lgkmcnt(4)
	v_mul_f64 v[76:77], v[34:35], v[48:49]
	v_mul_f64 v[12:13], v[34:35], v[46:47]
	v_fmac_f64_e32 v[76:77], v[32:33], v[46:47]
	v_fma_f64 v[48:49], v[32:33], v[48:49], -v[12:13]
	v_accvgpr_read_b32 v32, a132
	v_accvgpr_read_b32 v34, a134
	v_accvgpr_read_b32 v35, a135
	v_accvgpr_read_b32 v33, a133
	v_mul_f64 v[78:79], v[34:35], v[22:23]
	v_mul_f64 v[12:13], v[34:35], v[20:21]
	v_fmac_f64_e32 v[78:79], v[32:33], v[20:21]
	v_fma_f64 v[80:81], v[32:33], v[22:23], -v[12:13]
	v_accvgpr_read_b32 v20, a160
	v_accvgpr_read_b32 v22, a162
	v_accvgpr_read_b32 v23, a163
	v_accvgpr_read_b32 v21, a161
	;; [unrolled: 8-line block ×3, first 2 shown]
	v_mul_f64 v[86:87], v[22:23], v[18:19]
	v_fmac_f64_e32 v[86:87], v[20:21], v[16:17]
	v_mul_f64 v[12:13], v[22:23], v[16:17]
	v_accvgpr_read_b32 v14, a152
	v_accvgpr_read_b32 v16, a154
	;; [unrolled: 1-line block ×3, first 2 shown]
	v_fma_f64 v[88:89], v[20:21], v[18:19], -v[12:13]
	v_accvgpr_read_b32 v15, a153
	s_waitcnt lgkmcnt(2)
	v_mul_f64 v[90:91], v[16:17], v[56:57]
	v_mul_f64 v[12:13], v[16:17], v[54:55]
	v_fmac_f64_e32 v[90:91], v[14:15], v[54:55]
	v_fma_f64 v[92:93], v[14:15], v[56:57], -v[12:13]
	v_accvgpr_read_b32 v14, a148
	v_accvgpr_read_b32 v16, a150
	v_accvgpr_read_b32 v17, a151
	v_accvgpr_read_b32 v15, a149
	v_mul_f64 v[94:95], v[16:17], v[26:27]
	v_mul_f64 v[12:13], v[16:17], v[24:25]
	v_fmac_f64_e32 v[94:95], v[14:15], v[24:25]
	v_fma_f64 v[96:97], v[14:15], v[26:27], -v[12:13]
	v_accvgpr_read_b32 v14, a176
	v_accvgpr_read_b32 v16, a178
	v_accvgpr_read_b32 v17, a179
	v_accvgpr_read_b32 v15, a177
	;; [unrolled: 8-line block ×4, first 2 shown]
	s_waitcnt lgkmcnt(1)
	v_mul_f64 v[44:45], v[16:17], v[60:61]
	v_mul_f64 v[12:13], v[16:17], v[58:59]
	v_fmac_f64_e32 v[44:45], v[14:15], v[58:59]
	v_fma_f64 v[36:37], v[14:15], v[60:61], -v[12:13]
	v_accvgpr_read_b32 v14, a164
	v_accvgpr_read_b32 v16, a166
	v_accvgpr_read_b32 v17, a167
	v_accvgpr_read_b32 v15, a165
	s_waitcnt lgkmcnt(0)
	v_mul_f64 v[12:13], v[16:17], v[66:67]
	v_fma_f64 v[38:39], v[14:15], v[68:69], -v[12:13]
	v_add_f64 v[12:13], v[0:1], v[62:63]
	v_add_f64 v[12:13], v[12:13], v[72:73]
	;; [unrolled: 1-line block ×3, first 2 shown]
	v_mul_f64 v[46:47], v[16:17], v[68:69]
	v_add_f64 v[16:17], v[12:13], v[78:79]
	v_add_f64 v[12:13], v[72:73], v[76:77]
	s_mov_b32 s2, 0x134454ff
	v_fmac_f64_e32 v[46:47], v[14:15], v[66:67]
	v_fma_f64 v[12:13], -0.5, v[12:13], v[0:1]
	v_add_f64 v[14:15], v[70:71], -v[80:81]
	s_mov_b32 s3, 0xbfee6f0e
	s_mov_b32 s0, 0x4755a5e
	;; [unrolled: 1-line block ×4, first 2 shown]
	v_fma_f64 v[20:21], s[2:3], v[14:15], v[12:13]
	v_add_f64 v[18:19], v[74:75], -v[48:49]
	s_mov_b32 s1, 0xbfe2cf23
	v_add_f64 v[22:23], v[62:63], -v[72:73]
	v_add_f64 v[24:25], v[78:79], -v[76:77]
	s_mov_b32 s4, 0x372fe950
	v_fmac_f64_e32 v[12:13], s[12:13], v[14:15]
	s_mov_b32 s15, 0x3fe2cf23
	s_mov_b32 s14, s0
	v_fmac_f64_e32 v[20:21], s[0:1], v[18:19]
	v_add_f64 v[22:23], v[22:23], v[24:25]
	s_mov_b32 s5, 0x3fd3c6ef
	v_fmac_f64_e32 v[12:13], s[14:15], v[18:19]
	v_fmac_f64_e32 v[20:21], s[4:5], v[22:23]
	;; [unrolled: 1-line block ×3, first 2 shown]
	v_add_f64 v[22:23], v[62:63], v[78:79]
	v_fmac_f64_e32 v[0:1], -0.5, v[22:23]
	v_fma_f64 v[24:25], s[12:13], v[18:19], v[0:1]
	v_fmac_f64_e32 v[0:1], s[2:3], v[18:19]
	v_fmac_f64_e32 v[24:25], s[0:1], v[14:15]
	;; [unrolled: 1-line block ×3, first 2 shown]
	v_add_f64 v[14:15], v[2:3], v[70:71]
	v_add_f64 v[14:15], v[14:15], v[74:75]
	;; [unrolled: 1-line block ×3, first 2 shown]
	v_add_f64 v[22:23], v[72:73], -v[62:63]
	v_add_f64 v[26:27], v[76:77], -v[78:79]
	v_add_f64 v[18:19], v[14:15], v[80:81]
	v_add_f64 v[14:15], v[74:75], v[48:49]
	;; [unrolled: 1-line block ×3, first 2 shown]
	v_fma_f64 v[14:15], -0.5, v[14:15], v[2:3]
	v_add_f64 v[50:51], v[62:63], -v[78:79]
	v_fmac_f64_e32 v[24:25], s[4:5], v[22:23]
	v_fmac_f64_e32 v[0:1], s[4:5], v[22:23]
	v_fma_f64 v[22:23], s[12:13], v[50:51], v[14:15]
	v_add_f64 v[52:53], v[72:73], -v[76:77]
	v_add_f64 v[26:27], v[70:71], -v[74:75]
	;; [unrolled: 1-line block ×3, first 2 shown]
	v_fmac_f64_e32 v[14:15], s[2:3], v[50:51]
	v_fmac_f64_e32 v[22:23], s[14:15], v[52:53]
	v_add_f64 v[26:27], v[26:27], v[54:55]
	v_fmac_f64_e32 v[14:15], s[0:1], v[52:53]
	v_fmac_f64_e32 v[22:23], s[4:5], v[26:27]
	;; [unrolled: 1-line block ×3, first 2 shown]
	v_add_f64 v[26:27], v[70:71], v[80:81]
	v_fmac_f64_e32 v[2:3], -0.5, v[26:27]
	v_fma_f64 v[26:27], s[2:3], v[52:53], v[2:3]
	v_fmac_f64_e32 v[2:3], s[12:13], v[52:53]
	v_fmac_f64_e32 v[26:27], s[14:15], v[50:51]
	;; [unrolled: 1-line block ×3, first 2 shown]
	v_add_f64 v[50:51], v[86:87], v[90:91]
	v_add_f64 v[54:55], v[74:75], -v[70:71]
	v_add_f64 v[48:49], v[48:49], -v[80:81]
	v_fma_f64 v[52:53], -0.5, v[50:51], v[4:5]
	v_add_f64 v[50:51], v[84:85], -v[96:97]
	v_add_f64 v[48:49], v[54:55], v[48:49]
	v_fma_f64 v[56:57], s[2:3], v[50:51], v[52:53]
	v_add_f64 v[54:55], v[88:89], -v[92:93]
	v_add_f64 v[58:59], v[82:83], -v[86:87]
	;; [unrolled: 1-line block ×3, first 2 shown]
	v_fmac_f64_e32 v[52:53], s[12:13], v[50:51]
	v_fmac_f64_e32 v[56:57], s[0:1], v[54:55]
	v_add_f64 v[58:59], v[58:59], v[60:61]
	v_fmac_f64_e32 v[52:53], s[14:15], v[54:55]
	v_fmac_f64_e32 v[56:57], s[4:5], v[58:59]
	v_fmac_f64_e32 v[52:53], s[4:5], v[58:59]
	v_add_f64 v[58:59], v[82:83], v[94:95]
	v_fmac_f64_e32 v[26:27], s[4:5], v[48:49]
	v_fmac_f64_e32 v[2:3], s[4:5], v[48:49]
	v_add_f64 v[48:49], v[4:5], v[82:83]
	v_fmac_f64_e32 v[4:5], -0.5, v[58:59]
	v_fma_f64 v[60:61], s[12:13], v[54:55], v[4:5]
	v_add_f64 v[58:59], v[86:87], -v[82:83]
	v_add_f64 v[62:63], v[90:91], -v[94:95]
	v_fmac_f64_e32 v[4:5], s[2:3], v[54:55]
	v_add_f64 v[54:55], v[88:89], v[92:93]
	v_fmac_f64_e32 v[60:61], s[0:1], v[50:51]
	v_add_f64 v[58:59], v[58:59], v[62:63]
	v_fmac_f64_e32 v[4:5], s[14:15], v[50:51]
	v_fma_f64 v[54:55], -0.5, v[54:55], v[6:7]
	v_add_f64 v[66:67], v[82:83], -v[94:95]
	v_fmac_f64_e32 v[60:61], s[4:5], v[58:59]
	v_fmac_f64_e32 v[4:5], s[4:5], v[58:59]
	v_fma_f64 v[58:59], s[12:13], v[66:67], v[54:55]
	v_add_f64 v[68:69], v[86:87], -v[90:91]
	v_add_f64 v[62:63], v[84:85], -v[88:89]
	v_add_f64 v[70:71], v[96:97], -v[92:93]
	v_fmac_f64_e32 v[54:55], s[2:3], v[66:67]
	v_fmac_f64_e32 v[58:59], s[14:15], v[68:69]
	v_add_f64 v[62:63], v[62:63], v[70:71]
	v_fmac_f64_e32 v[54:55], s[0:1], v[68:69]
	v_fmac_f64_e32 v[58:59], s[4:5], v[62:63]
	;; [unrolled: 1-line block ×3, first 2 shown]
	v_add_f64 v[62:63], v[84:85], v[96:97]
	v_add_f64 v[50:51], v[6:7], v[84:85]
	v_fmac_f64_e32 v[6:7], -0.5, v[62:63]
	v_fma_f64 v[62:63], s[2:3], v[68:69], v[6:7]
	v_add_f64 v[70:71], v[88:89], -v[84:85]
	v_add_f64 v[72:73], v[92:93], -v[96:97]
	v_fmac_f64_e32 v[6:7], s[12:13], v[68:69]
	v_fmac_f64_e32 v[62:63], s[14:15], v[66:67]
	v_add_f64 v[70:71], v[70:71], v[72:73]
	v_fmac_f64_e32 v[6:7], s[0:1], v[66:67]
	v_add_f64 v[68:69], v[42:43], v[44:45]
	v_fmac_f64_e32 v[62:63], s[4:5], v[70:71]
	v_fmac_f64_e32 v[6:7], s[4:5], v[70:71]
	v_fma_f64 v[70:71], -0.5, v[68:69], v[8:9]
	v_add_f64 v[68:69], v[32:33], -v[38:39]
	v_fma_f64 v[74:75], s[2:3], v[68:69], v[70:71]
	v_add_f64 v[72:73], v[34:35], -v[36:37]
	v_add_f64 v[76:77], v[40:41], -v[42:43]
	;; [unrolled: 1-line block ×3, first 2 shown]
	v_fmac_f64_e32 v[70:71], s[12:13], v[68:69]
	v_fmac_f64_e32 v[74:75], s[0:1], v[72:73]
	v_add_f64 v[76:77], v[76:77], v[78:79]
	v_fmac_f64_e32 v[70:71], s[14:15], v[72:73]
	v_fmac_f64_e32 v[74:75], s[4:5], v[76:77]
	v_fmac_f64_e32 v[70:71], s[4:5], v[76:77]
	v_add_f64 v[76:77], v[40:41], v[46:47]
	v_add_f64 v[66:67], v[8:9], v[40:41]
	v_fmac_f64_e32 v[8:9], -0.5, v[76:77]
	v_add_f64 v[66:67], v[66:67], v[42:43]
	v_fma_f64 v[78:79], s[12:13], v[72:73], v[8:9]
	v_add_f64 v[76:77], v[42:43], -v[40:41]
	v_add_f64 v[80:81], v[44:45], -v[46:47]
	v_fmac_f64_e32 v[8:9], s[2:3], v[72:73]
	v_add_f64 v[72:73], v[34:35], v[36:37]
	v_add_f64 v[66:67], v[66:67], v[44:45]
	v_fmac_f64_e32 v[78:79], s[0:1], v[68:69]
	v_add_f64 v[76:77], v[76:77], v[80:81]
	v_fmac_f64_e32 v[8:9], s[14:15], v[68:69]
	v_fma_f64 v[72:73], -0.5, v[72:73], v[10:11]
	v_add_f64 v[40:41], v[40:41], -v[46:47]
	v_add_f64 v[66:67], v[66:67], v[46:47]
	v_fmac_f64_e32 v[78:79], s[4:5], v[76:77]
	v_fmac_f64_e32 v[8:9], s[4:5], v[76:77]
	v_fma_f64 v[76:77], s[12:13], v[40:41], v[72:73]
	v_add_f64 v[42:43], v[42:43], -v[44:45]
	v_add_f64 v[44:45], v[32:33], -v[34:35]
	;; [unrolled: 1-line block ×3, first 2 shown]
	v_fmac_f64_e32 v[72:73], s[2:3], v[40:41]
	v_fmac_f64_e32 v[76:77], s[14:15], v[42:43]
	v_add_f64 v[44:45], v[44:45], v[46:47]
	v_fmac_f64_e32 v[72:73], s[0:1], v[42:43]
	v_fmac_f64_e32 v[76:77], s[4:5], v[44:45]
	;; [unrolled: 1-line block ×3, first 2 shown]
	v_add_f64 v[44:45], v[32:33], v[38:39]
	v_add_f64 v[68:69], v[10:11], v[32:33]
	v_fmac_f64_e32 v[10:11], -0.5, v[44:45]
	v_add_f64 v[48:49], v[48:49], v[86:87]
	v_add_f64 v[50:51], v[50:51], v[88:89]
	;; [unrolled: 1-line block ×3, first 2 shown]
	v_fma_f64 v[80:81], s[2:3], v[42:43], v[10:11]
	v_add_f64 v[32:33], v[34:35], -v[32:33]
	v_add_f64 v[34:35], v[36:37], -v[38:39]
	v_fmac_f64_e32 v[10:11], s[12:13], v[42:43]
	v_add_f64 v[48:49], v[48:49], v[90:91]
	v_add_f64 v[50:51], v[50:51], v[92:93]
	;; [unrolled: 1-line block ×4, first 2 shown]
	v_fmac_f64_e32 v[10:11], s[0:1], v[40:41]
	v_add_f64 v[48:49], v[48:49], v[94:95]
	v_add_f64 v[50:51], v[50:51], v[96:97]
	;; [unrolled: 1-line block ×3, first 2 shown]
	v_fmac_f64_e32 v[80:81], s[14:15], v[40:41]
	v_fmac_f64_e32 v[10:11], s[4:5], v[32:33]
	;; [unrolled: 1-line block ×3, first 2 shown]
	s_barrier
	ds_write_b128 v142, v[16:19]
	ds_write_b128 v142, v[20:23] offset:1056
	ds_write_b128 v142, v[24:27] offset:2112
	ds_write_b128 v142, v[0:3] offset:3168
	ds_write_b128 v142, v[12:15] offset:4224
	ds_write_b128 v143, v[48:51]
	ds_write_b128 v143, v[56:59] offset:1056
	ds_write_b128 v143, v[60:63] offset:2112
	ds_write_b128 v143, v[4:7] offset:3168
	ds_write_b128 v143, v[52:55] offset:4224
	;; [unrolled: 5-line block ×3, first 2 shown]
	s_waitcnt lgkmcnt(0)
	s_barrier
	ds_read_b128 v[0:3], v158
	ds_read_b128 v[4:7], v158 offset:1760
	ds_read_b128 v[12:15], v158 offset:10560
	ds_read_b128 v[16:19], v158 offset:12320
	ds_read_b128 v[20:23], v158 offset:21120
	ds_read_b128 v[24:27], v158 offset:22880
	ds_read_b128 v[32:35], v158 offset:5280
	ds_read_b128 v[8:11], v158 offset:3520
	ds_read_b128 v[36:39], v158 offset:7040
	ds_read_b128 v[42:45], v158 offset:8800
	ds_read_b128 v[46:49], v158 offset:15840
	ds_read_b128 v[50:53], v158 offset:14080
	ds_read_b128 v[54:57], v158 offset:17600
	ds_read_b128 v[58:61], v158 offset:19360
	ds_read_b128 v[66:69], v158 offset:24640
	s_waitcnt lgkmcnt(12)
	v_mul_f64 v[72:73], v[206:207], v[14:15]
	v_fmac_f64_e32 v[72:73], v[204:205], v[12:13]
	v_mul_f64 v[12:13], v[206:207], v[12:13]
	v_fma_f64 v[74:75], v[204:205], v[14:15], -v[12:13]
	s_waitcnt lgkmcnt(4)
	v_mul_f64 v[12:13], v[202:203], v[46:47]
	v_mul_f64 v[76:77], v[202:203], v[48:49]
	v_fma_f64 v[48:49], v[200:201], v[48:49], -v[12:13]
	v_mul_f64 v[12:13], v[194:195], v[20:21]
	v_fma_f64 v[80:81], v[192:193], v[22:23], -v[12:13]
	;; [unrolled: 2-line block ×4, first 2 shown]
	s_waitcnt lgkmcnt(2)
	v_mul_f64 v[12:13], v[214:215], v[54:55]
	v_mul_f64 v[62:63], v[198:199], v[34:35]
	v_fma_f64 v[92:93], v[212:213], v[56:57], -v[12:13]
	v_mul_f64 v[12:13], v[210:211], v[24:25]
	v_fmac_f64_e32 v[62:63], v[196:197], v[32:33]
	v_mul_f64 v[32:33], v[198:199], v[32:33]
	v_fma_f64 v[96:97], v[208:209], v[26:27], -v[12:13]
	v_mul_f64 v[12:13], v[234:235], v[42:43]
	v_fma_f64 v[70:71], v[196:197], v[34:35], -v[32:33]
	v_fma_f64 v[32:33], v[232:233], v[44:45], -v[12:13]
	v_mul_f64 v[12:13], v[238:239], v[50:51]
	v_mul_f64 v[82:83], v[218:219], v[38:39]
	v_fma_f64 v[34:35], v[236:237], v[52:53], -v[12:13]
	s_waitcnt lgkmcnt(1)
	v_mul_f64 v[12:13], v[230:231], v[58:59]
	v_fmac_f64_e32 v[82:83], v[216:217], v[36:37]
	v_fma_f64 v[36:37], v[228:229], v[60:61], -v[12:13]
	s_waitcnt lgkmcnt(0)
	v_mul_f64 v[12:13], v[226:227], v[66:67]
	v_fma_f64 v[38:39], v[224:225], v[68:69], -v[12:13]
	v_add_f64 v[12:13], v[0:1], v[62:63]
	v_fmac_f64_e32 v[76:77], v[200:201], v[46:47]
	v_mul_f64 v[78:79], v[194:195], v[22:23]
	v_add_f64 v[12:13], v[12:13], v[72:73]
	v_fmac_f64_e32 v[78:79], v[192:193], v[20:21]
	v_mul_f64 v[86:87], v[222:223], v[18:19]
	v_add_f64 v[12:13], v[12:13], v[76:77]
	v_fmac_f64_e32 v[86:87], v[220:221], v[16:17]
	v_add_f64 v[16:17], v[12:13], v[78:79]
	v_add_f64 v[12:13], v[72:73], v[76:77]
	v_mul_f64 v[94:95], v[210:211], v[26:27]
	v_fma_f64 v[12:13], -0.5, v[12:13], v[0:1]
	v_add_f64 v[14:15], v[70:71], -v[80:81]
	v_fmac_f64_e32 v[94:95], v[208:209], v[24:25]
	v_fma_f64 v[20:21], s[2:3], v[14:15], v[12:13]
	v_add_f64 v[18:19], v[74:75], -v[48:49]
	v_add_f64 v[22:23], v[62:63], -v[72:73]
	;; [unrolled: 1-line block ×3, first 2 shown]
	v_fmac_f64_e32 v[12:13], s[12:13], v[14:15]
	v_fmac_f64_e32 v[20:21], s[0:1], v[18:19]
	v_add_f64 v[22:23], v[22:23], v[24:25]
	v_fmac_f64_e32 v[12:13], s[14:15], v[18:19]
	v_fmac_f64_e32 v[20:21], s[4:5], v[22:23]
	;; [unrolled: 1-line block ×3, first 2 shown]
	v_add_f64 v[22:23], v[62:63], v[78:79]
	v_fmac_f64_e32 v[0:1], -0.5, v[22:23]
	v_fma_f64 v[24:25], s[12:13], v[18:19], v[0:1]
	v_fmac_f64_e32 v[0:1], s[2:3], v[18:19]
	v_fmac_f64_e32 v[24:25], s[0:1], v[14:15]
	;; [unrolled: 1-line block ×3, first 2 shown]
	v_add_f64 v[14:15], v[2:3], v[70:71]
	v_add_f64 v[14:15], v[14:15], v[74:75]
	v_mul_f64 v[40:41], v[234:235], v[44:45]
	v_add_f64 v[14:15], v[14:15], v[48:49]
	v_fmac_f64_e32 v[40:41], v[232:233], v[42:43]
	v_mul_f64 v[42:43], v[238:239], v[52:53]
	v_add_f64 v[22:23], v[72:73], -v[62:63]
	v_add_f64 v[26:27], v[76:77], -v[78:79]
	v_add_f64 v[18:19], v[14:15], v[80:81]
	v_add_f64 v[14:15], v[74:75], v[48:49]
	v_mul_f64 v[90:91], v[214:215], v[56:57]
	v_fmac_f64_e32 v[42:43], v[236:237], v[50:51]
	v_add_f64 v[22:23], v[22:23], v[26:27]
	v_fma_f64 v[14:15], -0.5, v[14:15], v[2:3]
	v_add_f64 v[50:51], v[62:63], -v[78:79]
	v_fmac_f64_e32 v[90:91], v[212:213], v[54:55]
	v_fmac_f64_e32 v[24:25], s[4:5], v[22:23]
	v_fmac_f64_e32 v[0:1], s[4:5], v[22:23]
	v_fma_f64 v[22:23], s[12:13], v[50:51], v[14:15]
	v_add_f64 v[52:53], v[72:73], -v[76:77]
	v_add_f64 v[26:27], v[70:71], -v[74:75]
	;; [unrolled: 1-line block ×3, first 2 shown]
	v_fmac_f64_e32 v[14:15], s[2:3], v[50:51]
	v_fmac_f64_e32 v[22:23], s[14:15], v[52:53]
	v_add_f64 v[26:27], v[26:27], v[54:55]
	v_fmac_f64_e32 v[14:15], s[0:1], v[52:53]
	v_fmac_f64_e32 v[22:23], s[4:5], v[26:27]
	;; [unrolled: 1-line block ×3, first 2 shown]
	v_add_f64 v[26:27], v[70:71], v[80:81]
	v_fmac_f64_e32 v[2:3], -0.5, v[26:27]
	v_fma_f64 v[26:27], s[2:3], v[52:53], v[2:3]
	v_fmac_f64_e32 v[2:3], s[12:13], v[52:53]
	v_fmac_f64_e32 v[26:27], s[14:15], v[50:51]
	;; [unrolled: 1-line block ×3, first 2 shown]
	v_add_f64 v[50:51], v[86:87], v[90:91]
	v_mul_f64 v[44:45], v[230:231], v[60:61]
	v_add_f64 v[54:55], v[74:75], -v[70:71]
	v_add_f64 v[48:49], v[48:49], -v[80:81]
	v_fma_f64 v[52:53], -0.5, v[50:51], v[4:5]
	v_add_f64 v[50:51], v[84:85], -v[96:97]
	v_fmac_f64_e32 v[44:45], v[228:229], v[58:59]
	v_add_f64 v[48:49], v[54:55], v[48:49]
	v_fma_f64 v[56:57], s[2:3], v[50:51], v[52:53]
	v_add_f64 v[54:55], v[88:89], -v[92:93]
	v_add_f64 v[58:59], v[82:83], -v[86:87]
	;; [unrolled: 1-line block ×3, first 2 shown]
	v_fmac_f64_e32 v[52:53], s[12:13], v[50:51]
	v_fmac_f64_e32 v[56:57], s[0:1], v[54:55]
	v_add_f64 v[58:59], v[58:59], v[60:61]
	v_fmac_f64_e32 v[52:53], s[14:15], v[54:55]
	v_fmac_f64_e32 v[56:57], s[4:5], v[58:59]
	;; [unrolled: 1-line block ×3, first 2 shown]
	v_add_f64 v[58:59], v[82:83], v[94:95]
	v_fmac_f64_e32 v[26:27], s[4:5], v[48:49]
	v_fmac_f64_e32 v[2:3], s[4:5], v[48:49]
	v_add_f64 v[48:49], v[4:5], v[82:83]
	v_fmac_f64_e32 v[4:5], -0.5, v[58:59]
	v_mul_f64 v[46:47], v[226:227], v[68:69]
	v_fma_f64 v[60:61], s[12:13], v[54:55], v[4:5]
	v_add_f64 v[58:59], v[86:87], -v[82:83]
	v_add_f64 v[62:63], v[90:91], -v[94:95]
	v_fmac_f64_e32 v[4:5], s[2:3], v[54:55]
	v_add_f64 v[54:55], v[88:89], v[92:93]
	v_fmac_f64_e32 v[46:47], v[224:225], v[66:67]
	v_fmac_f64_e32 v[60:61], s[0:1], v[50:51]
	v_add_f64 v[58:59], v[58:59], v[62:63]
	v_fmac_f64_e32 v[4:5], s[14:15], v[50:51]
	v_fma_f64 v[54:55], -0.5, v[54:55], v[6:7]
	v_add_f64 v[66:67], v[82:83], -v[94:95]
	v_fmac_f64_e32 v[60:61], s[4:5], v[58:59]
	v_fmac_f64_e32 v[4:5], s[4:5], v[58:59]
	v_fma_f64 v[58:59], s[12:13], v[66:67], v[54:55]
	v_add_f64 v[68:69], v[86:87], -v[90:91]
	v_add_f64 v[62:63], v[84:85], -v[88:89]
	;; [unrolled: 1-line block ×3, first 2 shown]
	v_fmac_f64_e32 v[54:55], s[2:3], v[66:67]
	v_fmac_f64_e32 v[58:59], s[14:15], v[68:69]
	v_add_f64 v[62:63], v[62:63], v[70:71]
	v_fmac_f64_e32 v[54:55], s[0:1], v[68:69]
	v_fmac_f64_e32 v[58:59], s[4:5], v[62:63]
	;; [unrolled: 1-line block ×3, first 2 shown]
	v_add_f64 v[62:63], v[84:85], v[96:97]
	v_add_f64 v[50:51], v[6:7], v[84:85]
	v_fmac_f64_e32 v[6:7], -0.5, v[62:63]
	v_fma_f64 v[62:63], s[2:3], v[68:69], v[6:7]
	v_add_f64 v[70:71], v[88:89], -v[84:85]
	v_add_f64 v[72:73], v[92:93], -v[96:97]
	v_fmac_f64_e32 v[6:7], s[12:13], v[68:69]
	v_fmac_f64_e32 v[62:63], s[14:15], v[66:67]
	v_add_f64 v[70:71], v[70:71], v[72:73]
	v_fmac_f64_e32 v[6:7], s[0:1], v[66:67]
	v_add_f64 v[68:69], v[42:43], v[44:45]
	v_fmac_f64_e32 v[62:63], s[4:5], v[70:71]
	v_fmac_f64_e32 v[6:7], s[4:5], v[70:71]
	v_fma_f64 v[70:71], -0.5, v[68:69], v[8:9]
	v_add_f64 v[68:69], v[32:33], -v[38:39]
	v_fma_f64 v[74:75], s[2:3], v[68:69], v[70:71]
	v_add_f64 v[72:73], v[34:35], -v[36:37]
	v_add_f64 v[76:77], v[40:41], -v[42:43]
	;; [unrolled: 1-line block ×3, first 2 shown]
	v_fmac_f64_e32 v[70:71], s[12:13], v[68:69]
	v_fmac_f64_e32 v[74:75], s[0:1], v[72:73]
	v_add_f64 v[76:77], v[76:77], v[78:79]
	v_fmac_f64_e32 v[70:71], s[14:15], v[72:73]
	v_fmac_f64_e32 v[74:75], s[4:5], v[76:77]
	;; [unrolled: 1-line block ×3, first 2 shown]
	v_add_f64 v[76:77], v[40:41], v[46:47]
	v_add_f64 v[66:67], v[8:9], v[40:41]
	v_fmac_f64_e32 v[8:9], -0.5, v[76:77]
	v_add_f64 v[66:67], v[66:67], v[42:43]
	v_fma_f64 v[78:79], s[12:13], v[72:73], v[8:9]
	v_add_f64 v[76:77], v[42:43], -v[40:41]
	v_add_f64 v[80:81], v[44:45], -v[46:47]
	v_fmac_f64_e32 v[8:9], s[2:3], v[72:73]
	v_add_f64 v[72:73], v[34:35], v[36:37]
	v_add_f64 v[66:67], v[66:67], v[44:45]
	v_fmac_f64_e32 v[78:79], s[0:1], v[68:69]
	v_add_f64 v[76:77], v[76:77], v[80:81]
	v_fmac_f64_e32 v[8:9], s[14:15], v[68:69]
	v_fma_f64 v[72:73], -0.5, v[72:73], v[10:11]
	v_add_f64 v[40:41], v[40:41], -v[46:47]
	v_add_f64 v[66:67], v[66:67], v[46:47]
	v_fmac_f64_e32 v[78:79], s[4:5], v[76:77]
	v_fmac_f64_e32 v[8:9], s[4:5], v[76:77]
	v_fma_f64 v[76:77], s[12:13], v[40:41], v[72:73]
	v_add_f64 v[42:43], v[42:43], -v[44:45]
	v_add_f64 v[44:45], v[32:33], -v[34:35]
	;; [unrolled: 1-line block ×3, first 2 shown]
	v_fmac_f64_e32 v[72:73], s[2:3], v[40:41]
	v_fmac_f64_e32 v[76:77], s[14:15], v[42:43]
	v_add_f64 v[44:45], v[44:45], v[46:47]
	v_fmac_f64_e32 v[72:73], s[0:1], v[42:43]
	v_fmac_f64_e32 v[76:77], s[4:5], v[44:45]
	v_fmac_f64_e32 v[72:73], s[4:5], v[44:45]
	v_add_f64 v[44:45], v[32:33], v[38:39]
	v_add_f64 v[68:69], v[10:11], v[32:33]
	v_fmac_f64_e32 v[10:11], -0.5, v[44:45]
	v_add_f64 v[48:49], v[48:49], v[86:87]
	v_add_f64 v[50:51], v[50:51], v[88:89]
	;; [unrolled: 1-line block ×3, first 2 shown]
	v_fma_f64 v[80:81], s[2:3], v[42:43], v[10:11]
	v_add_f64 v[32:33], v[34:35], -v[32:33]
	v_add_f64 v[34:35], v[36:37], -v[38:39]
	v_fmac_f64_e32 v[10:11], s[12:13], v[42:43]
	v_add_f64 v[48:49], v[48:49], v[90:91]
	v_add_f64 v[50:51], v[50:51], v[92:93]
	;; [unrolled: 1-line block ×3, first 2 shown]
	v_fmac_f64_e32 v[80:81], s[14:15], v[40:41]
	v_add_f64 v[32:33], v[32:33], v[34:35]
	v_fmac_f64_e32 v[10:11], s[0:1], v[40:41]
	v_add_f64 v[48:49], v[48:49], v[94:95]
	v_add_f64 v[50:51], v[50:51], v[96:97]
	;; [unrolled: 1-line block ×3, first 2 shown]
	v_fmac_f64_e32 v[80:81], s[4:5], v[32:33]
	v_fmac_f64_e32 v[10:11], s[4:5], v[32:33]
	ds_write_b128 v158, v[16:19]
	ds_write_b128 v158, v[20:23] offset:5280
	ds_write_b128 v158, v[24:27] offset:10560
	;; [unrolled: 1-line block ×14, first 2 shown]
	s_waitcnt lgkmcnt(0)
	s_barrier
	ds_read_b128 v[0:3], v158
	v_accvgpr_read_b32 v10, a36
	v_mad_u64_u32 v[4:5], s[0:1], s11, v98, v[30:31]
	v_accvgpr_read_b32 v12, a38
	v_accvgpr_read_b32 v13, a39
	v_mov_b32_e32 v29, v4
	ds_read_b128 v[4:7], v158 offset:2400
	v_accvgpr_read_b32 v11, a37
	s_waitcnt lgkmcnt(1)
	v_mul_f64 v[8:9], v[12:13], v[2:3]
	v_fmac_f64_e32 v[8:9], v[10:11], v[0:1]
	s_mov_b32 s2, 0x3dc013dc
	v_mul_f64 v[0:1], v[12:13], v[0:1]
	s_mov_b32 s3, 0x3f43dc01
	v_fma_f64 v[0:1], v[10:11], v[2:3], -v[0:1]
	v_accvgpr_read_b32 v12, a0
	v_mul_f64 v[10:11], v[0:1], s[2:3]
	v_mad_u64_u32 v[0:1], s[0:1], s8, v12, 0
	v_mov_b32_e32 v2, v1
	v_mad_u64_u32 v[2:3], s[0:1], s9, v12, v[2:3]
	v_mov_b32_e32 v1, v2
	v_lshlrev_b64 v[2:3], 4, v[28:29]
	v_mov_b32_e32 v12, s7
	v_add_co_u32_e64 v2, s[0:1], s6, v2
	v_addc_co_u32_e64 v3, s[0:1], v12, v3, s[0:1]
	v_lshlrev_b64 v[0:1], 4, v[0:1]
	v_add_co_u32_e64 v12, s[0:1], v2, v0
	v_mul_f64 v[8:9], v[8:9], s[2:3]
	v_addc_co_u32_e64 v13, s[0:1], v3, v1, s[0:1]
	global_store_dwordx4 v[12:13], v[8:11], off
	s_mul_i32 s0, s9, 0x96
	v_accvgpr_read_b32 v8, a8
	v_accvgpr_read_b32 v10, a10
	;; [unrolled: 1-line block ×4, first 2 shown]
	s_waitcnt lgkmcnt(0)
	v_mul_f64 v[0:1], v[10:11], v[6:7]
	v_mul_f64 v[2:3], v[10:11], v[4:5]
	v_fmac_f64_e32 v[0:1], v[8:9], v[4:5]
	v_fma_f64 v[2:3], v[8:9], v[6:7], -v[2:3]
	s_mul_hi_u32 s1, s8, 0x96
	ds_read_b128 v[4:7], v158 offset:4800
	s_add_i32 s1, s1, s0
	s_mul_i32 s0, s8, 0x96
	s_lshl_b64 s[4:5], s[0:1], 4
	v_mov_b32_e32 v14, s5
	v_add_co_u32_e64 v12, s[0:1], s4, v12
	v_accvgpr_read_b32 v16, a24
	v_mul_f64 v[0:1], v[0:1], s[2:3]
	v_mul_f64 v[2:3], v[2:3], s[2:3]
	v_addc_co_u32_e64 v13, s[0:1], v13, v14, s[0:1]
	v_accvgpr_read_b32 v18, a26
	v_accvgpr_read_b32 v19, a27
	global_store_dwordx4 v[12:13], v[0:3], off
	ds_read_b128 v[0:3], v158 offset:7200
	v_accvgpr_read_b32 v17, a25
	s_waitcnt lgkmcnt(1)
	v_mul_f64 v[8:9], v[18:19], v[6:7]
	v_fmac_f64_e32 v[8:9], v[16:17], v[4:5]
	v_mul_f64 v[4:5], v[18:19], v[4:5]
	v_fma_f64 v[4:5], v[16:17], v[6:7], -v[4:5]
	v_add_co_u32_e64 v12, s[0:1], s4, v12
	v_mul_f64 v[8:9], v[8:9], s[2:3]
	v_mul_f64 v[10:11], v[4:5], s[2:3]
	v_addc_co_u32_e64 v13, s[0:1], v13, v14, s[0:1]
	global_store_dwordx4 v[12:13], v[8:11], off
	v_accvgpr_read_b32 v6, a16
	v_accvgpr_read_b32 v8, a18
	;; [unrolled: 1-line block ×4, first 2 shown]
	s_waitcnt lgkmcnt(0)
	v_mul_f64 v[4:5], v[8:9], v[2:3]
	v_fmac_f64_e32 v[4:5], v[6:7], v[0:1]
	v_mul_f64 v[0:1], v[8:9], v[0:1]
	v_fma_f64 v[0:1], v[6:7], v[2:3], -v[0:1]
	v_mul_f64 v[6:7], v[0:1], s[2:3]
	ds_read_b128 v[0:3], v158 offset:9600
	v_add_co_u32_e64 v12, s[0:1], s4, v12
	v_accvgpr_read_b32 v16, a40
	v_mul_f64 v[4:5], v[4:5], s[2:3]
	v_addc_co_u32_e64 v13, s[0:1], v13, v14, s[0:1]
	v_accvgpr_read_b32 v18, a42
	v_accvgpr_read_b32 v19, a43
	global_store_dwordx4 v[12:13], v[4:7], off
	ds_read_b128 v[4:7], v158 offset:12000
	v_accvgpr_read_b32 v17, a41
	s_waitcnt lgkmcnt(1)
	v_mul_f64 v[8:9], v[18:19], v[2:3]
	v_fmac_f64_e32 v[8:9], v[16:17], v[0:1]
	v_mul_f64 v[0:1], v[18:19], v[0:1]
	v_fma_f64 v[0:1], v[16:17], v[2:3], -v[0:1]
	v_add_co_u32_e64 v12, s[0:1], s4, v12
	v_mul_f64 v[8:9], v[8:9], s[2:3]
	v_mul_f64 v[10:11], v[0:1], s[2:3]
	v_addc_co_u32_e64 v13, s[0:1], v13, v14, s[0:1]
	global_store_dwordx4 v[12:13], v[8:11], off
	v_add_co_u32_e64 v12, s[0:1], s4, v12
	v_accvgpr_read_b32 v8, a20
	v_accvgpr_read_b32 v10, a22
	;; [unrolled: 1-line block ×4, first 2 shown]
	s_waitcnt lgkmcnt(0)
	v_mul_f64 v[0:1], v[10:11], v[6:7]
	v_mul_f64 v[2:3], v[10:11], v[4:5]
	v_fmac_f64_e32 v[0:1], v[8:9], v[4:5]
	v_fma_f64 v[2:3], v[8:9], v[6:7], -v[2:3]
	ds_read_b128 v[4:7], v158 offset:14400
	v_accvgpr_read_b32 v19, a7
	v_mul_f64 v[0:1], v[0:1], s[2:3]
	v_mul_f64 v[2:3], v[2:3], s[2:3]
	v_addc_co_u32_e64 v13, s[0:1], v13, v14, s[0:1]
	v_accvgpr_read_b32 v18, a6
	global_store_dwordx4 v[12:13], v[0:3], off
	ds_read_b128 v[0:3], v158 offset:16800
	v_accvgpr_read_b32 v17, a5
	v_accvgpr_read_b32 v16, a4
	s_waitcnt lgkmcnt(1)
	v_mul_f64 v[8:9], v[18:19], v[6:7]
	v_fmac_f64_e32 v[8:9], v[16:17], v[4:5]
	v_mul_f64 v[4:5], v[18:19], v[4:5]
	v_fma_f64 v[4:5], v[16:17], v[6:7], -v[4:5]
	v_add_co_u32_e64 v12, s[0:1], s4, v12
	v_mul_f64 v[8:9], v[8:9], s[2:3]
	v_mul_f64 v[10:11], v[4:5], s[2:3]
	v_addc_co_u32_e64 v13, s[0:1], v13, v14, s[0:1]
	global_store_dwordx4 v[12:13], v[8:11], off
	v_accvgpr_read_b32 v6, a44
	v_accvgpr_read_b32 v8, a46
	;; [unrolled: 1-line block ×4, first 2 shown]
	s_waitcnt lgkmcnt(0)
	v_mul_f64 v[4:5], v[8:9], v[2:3]
	v_fmac_f64_e32 v[4:5], v[6:7], v[0:1]
	v_mul_f64 v[0:1], v[8:9], v[0:1]
	v_fma_f64 v[0:1], v[6:7], v[2:3], -v[0:1]
	v_mul_f64 v[6:7], v[0:1], s[2:3]
	ds_read_b128 v[0:3], v158 offset:19200
	v_add_co_u32_e64 v12, s[0:1], s4, v12
	v_accvgpr_read_b32 v19, a15
	v_mul_f64 v[4:5], v[4:5], s[2:3]
	v_addc_co_u32_e64 v13, s[0:1], v13, v14, s[0:1]
	v_accvgpr_read_b32 v18, a14
	global_store_dwordx4 v[12:13], v[4:7], off
	ds_read_b128 v[4:7], v158 offset:21600
	v_accvgpr_read_b32 v17, a13
	v_accvgpr_read_b32 v16, a12
	s_waitcnt lgkmcnt(1)
	v_mul_f64 v[8:9], v[18:19], v[2:3]
	v_fmac_f64_e32 v[8:9], v[16:17], v[0:1]
	v_mul_f64 v[0:1], v[18:19], v[0:1]
	v_fma_f64 v[0:1], v[16:17], v[2:3], -v[0:1]
	v_add_co_u32_e64 v12, s[0:1], s4, v12
	v_mul_f64 v[8:9], v[8:9], s[2:3]
	v_mul_f64 v[10:11], v[0:1], s[2:3]
	v_addc_co_u32_e64 v13, s[0:1], v13, v14, s[0:1]
	global_store_dwordx4 v[12:13], v[8:11], off
	s_nop 0
	v_accvgpr_read_b32 v8, a28
	v_accvgpr_read_b32 v10, a30
	;; [unrolled: 1-line block ×4, first 2 shown]
	s_waitcnt lgkmcnt(0)
	v_mul_f64 v[0:1], v[10:11], v[6:7]
	v_mul_f64 v[2:3], v[10:11], v[4:5]
	v_fmac_f64_e32 v[0:1], v[8:9], v[4:5]
	v_fma_f64 v[2:3], v[8:9], v[6:7], -v[2:3]
	ds_read_b128 v[4:7], v158 offset:24000
	v_add_co_u32_e64 v8, s[0:1], s4, v12
	v_addc_co_u32_e64 v9, s[0:1], v13, v14, s[0:1]
	v_accvgpr_read_b32 v10, a32
	v_mul_f64 v[0:1], v[0:1], s[2:3]
	v_mul_f64 v[2:3], v[2:3], s[2:3]
	v_accvgpr_read_b32 v12, a34
	v_accvgpr_read_b32 v13, a35
	global_store_dwordx4 v[8:9], v[0:3], off
	v_accvgpr_read_b32 v11, a33
	s_waitcnt lgkmcnt(0)
	v_mul_f64 v[0:1], v[12:13], v[6:7]
	v_fmac_f64_e32 v[0:1], v[10:11], v[4:5]
	v_mul_f64 v[2:3], v[0:1], s[2:3]
	v_mul_f64 v[0:1], v[12:13], v[4:5]
	v_fma_f64 v[0:1], v[10:11], v[6:7], -v[0:1]
	v_mul_f64 v[4:5], v[0:1], s[2:3]
	v_add_co_u32_e64 v0, s[0:1], s4, v8
	v_addc_co_u32_e64 v1, s[0:1], v9, v14, s[0:1]
	global_store_dwordx4 v[0:1], v[2:5], off
	s_and_b64 exec, exec, vcc
	s_cbranch_execz .LBB0_23
; %bb.22:
	global_load_dwordx4 v[2:5], v[64:65], off offset:1760
	ds_read_b128 v[6:9], v158 offset:1760
	ds_read_b128 v[10:13], v158 offset:4160
	v_mov_b32_e32 v14, 0xffffa920
	s_mul_i32 s6, s9, 0xffffa920
	v_mad_u64_u32 v[14:15], s[0:1], s8, v14, v[0:1]
	s_movk_i32 s7, 0x1000
	s_sub_i32 s0, s6, s8
	v_add_co_u32_e32 v16, vcc, s7, v64
	v_add_u32_e32 v15, s0, v15
	v_addc_co_u32_e32 v17, vcc, 0, v65, vcc
	v_mov_b32_e32 v18, s5
	s_movk_i32 s0, 0x2000
	s_waitcnt vmcnt(0) lgkmcnt(1)
	v_mul_f64 v[0:1], v[8:9], v[4:5]
	v_mul_f64 v[4:5], v[6:7], v[4:5]
	v_fmac_f64_e32 v[0:1], v[6:7], v[2:3]
	v_fma_f64 v[2:3], v[2:3], v[8:9], -v[4:5]
	v_mul_f64 v[0:1], v[0:1], s[2:3]
	v_mul_f64 v[2:3], v[2:3], s[2:3]
	global_store_dwordx4 v[14:15], v[0:3], off
	global_load_dwordx4 v[0:3], v[16:17], off offset:64
	v_add_co_u32_e32 v14, vcc, s4, v14
	v_addc_co_u32_e32 v15, vcc, v15, v18, vcc
	s_waitcnt vmcnt(0) lgkmcnt(0)
	v_mul_f64 v[4:5], v[12:13], v[2:3]
	v_mul_f64 v[2:3], v[10:11], v[2:3]
	v_fmac_f64_e32 v[4:5], v[10:11], v[0:1]
	v_fma_f64 v[2:3], v[0:1], v[12:13], -v[2:3]
	v_mul_f64 v[0:1], v[4:5], s[2:3]
	v_mul_f64 v[2:3], v[2:3], s[2:3]
	global_store_dwordx4 v[14:15], v[0:3], off
	global_load_dwordx4 v[0:3], v[16:17], off offset:2464
	ds_read_b128 v[4:7], v158 offset:6560
	ds_read_b128 v[8:11], v158 offset:8960
	v_add_co_u32_e32 v12, vcc, s0, v64
	v_addc_co_u32_e32 v13, vcc, 0, v65, vcc
	v_add_co_u32_e32 v14, vcc, s4, v14
	v_addc_co_u32_e32 v15, vcc, v15, v18, vcc
	s_movk_i32 s0, 0x3000
	s_waitcnt vmcnt(0) lgkmcnt(1)
	v_mul_f64 v[16:17], v[6:7], v[2:3]
	v_mul_f64 v[2:3], v[4:5], v[2:3]
	v_fmac_f64_e32 v[16:17], v[4:5], v[0:1]
	v_fma_f64 v[2:3], v[0:1], v[6:7], -v[2:3]
	v_mul_f64 v[0:1], v[16:17], s[2:3]
	v_mul_f64 v[2:3], v[2:3], s[2:3]
	global_store_dwordx4 v[14:15], v[0:3], off
	global_load_dwordx4 v[0:3], v[12:13], off offset:768
	v_add_co_u32_e32 v14, vcc, s4, v14
	v_addc_co_u32_e32 v15, vcc, v15, v18, vcc
	s_waitcnt vmcnt(0) lgkmcnt(0)
	v_mul_f64 v[4:5], v[10:11], v[2:3]
	v_mul_f64 v[2:3], v[8:9], v[2:3]
	v_fmac_f64_e32 v[4:5], v[8:9], v[0:1]
	v_fma_f64 v[2:3], v[0:1], v[10:11], -v[2:3]
	v_mul_f64 v[0:1], v[4:5], s[2:3]
	v_mul_f64 v[2:3], v[2:3], s[2:3]
	global_store_dwordx4 v[14:15], v[0:3], off
	global_load_dwordx4 v[0:3], v[12:13], off offset:3168
	ds_read_b128 v[4:7], v158 offset:11360
	ds_read_b128 v[8:11], v158 offset:13760
	v_add_co_u32_e32 v12, vcc, s0, v64
	v_addc_co_u32_e32 v13, vcc, 0, v65, vcc
	v_add_co_u32_e32 v14, vcc, s4, v14
	v_addc_co_u32_e32 v15, vcc, v15, v18, vcc
	;; [unrolled: 27-line block ×3, first 2 shown]
	s_movk_i32 s0, 0x5000
	s_waitcnt vmcnt(0) lgkmcnt(1)
	v_mul_f64 v[16:17], v[6:7], v[2:3]
	v_mul_f64 v[2:3], v[4:5], v[2:3]
	v_fmac_f64_e32 v[16:17], v[4:5], v[0:1]
	v_fma_f64 v[2:3], v[0:1], v[6:7], -v[2:3]
	v_mul_f64 v[0:1], v[16:17], s[2:3]
	v_mul_f64 v[2:3], v[2:3], s[2:3]
	global_store_dwordx4 v[14:15], v[0:3], off
	global_load_dwordx4 v[0:3], v[12:13], off offset:2176
	v_add_co_u32_e32 v12, vcc, s0, v64
	v_addc_co_u32_e32 v13, vcc, 0, v65, vcc
	v_add_co_u32_e32 v14, vcc, s4, v14
	v_addc_co_u32_e32 v15, vcc, v15, v18, vcc
	s_movk_i32 s0, 0x6000
	s_waitcnt vmcnt(0) lgkmcnt(0)
	v_mul_f64 v[4:5], v[10:11], v[2:3]
	v_mul_f64 v[2:3], v[8:9], v[2:3]
	v_fmac_f64_e32 v[4:5], v[8:9], v[0:1]
	v_fma_f64 v[2:3], v[0:1], v[10:11], -v[2:3]
	v_mul_f64 v[0:1], v[4:5], s[2:3]
	v_mul_f64 v[2:3], v[2:3], s[2:3]
	global_store_dwordx4 v[14:15], v[0:3], off
	global_load_dwordx4 v[0:3], v[12:13], off offset:480
	ds_read_b128 v[4:7], v158 offset:20960
	ds_read_b128 v[8:11], v158 offset:23360
	v_add_co_u32_e32 v14, vcc, s4, v14
	v_addc_co_u32_e32 v15, vcc, v15, v18, vcc
	s_waitcnt vmcnt(0) lgkmcnt(1)
	v_mul_f64 v[16:17], v[6:7], v[2:3]
	v_mul_f64 v[2:3], v[4:5], v[2:3]
	v_fmac_f64_e32 v[16:17], v[4:5], v[0:1]
	v_fma_f64 v[2:3], v[0:1], v[6:7], -v[2:3]
	v_mul_f64 v[0:1], v[16:17], s[2:3]
	v_mul_f64 v[2:3], v[2:3], s[2:3]
	global_store_dwordx4 v[14:15], v[0:3], off
	global_load_dwordx4 v[0:3], v[12:13], off offset:2880
	v_add_co_u32_e32 v4, vcc, s0, v64
	v_addc_co_u32_e32 v5, vcc, 0, v65, vcc
	v_add_co_u32_e32 v12, vcc, s4, v14
	v_addc_co_u32_e32 v13, vcc, v15, v18, vcc
	s_waitcnt vmcnt(0) lgkmcnt(0)
	v_mul_f64 v[6:7], v[10:11], v[2:3]
	v_mul_f64 v[2:3], v[8:9], v[2:3]
	v_fmac_f64_e32 v[6:7], v[8:9], v[0:1]
	v_fma_f64 v[2:3], v[0:1], v[10:11], -v[2:3]
	v_mul_f64 v[0:1], v[6:7], s[2:3]
	v_mul_f64 v[2:3], v[2:3], s[2:3]
	global_store_dwordx4 v[12:13], v[0:3], off
	global_load_dwordx4 v[0:3], v[4:5], off offset:1184
	ds_read_b128 v[4:7], v158 offset:25760
	s_waitcnt vmcnt(0) lgkmcnt(0)
	v_mul_f64 v[8:9], v[6:7], v[2:3]
	v_mul_f64 v[2:3], v[4:5], v[2:3]
	v_fmac_f64_e32 v[8:9], v[4:5], v[0:1]
	v_fma_f64 v[2:3], v[0:1], v[6:7], -v[2:3]
	v_add_co_u32_e32 v4, vcc, s4, v12
	v_mul_f64 v[0:1], v[8:9], s[2:3]
	v_mul_f64 v[2:3], v[2:3], s[2:3]
	v_addc_co_u32_e32 v5, vcc, v13, v18, vcc
	global_store_dwordx4 v[4:5], v[0:3], off
.LBB0_23:
	s_endpgm
	.section	.rodata,"a",@progbits
	.p2align	6, 0x0
	.amdhsa_kernel bluestein_single_back_len1650_dim1_dp_op_CI_CI
		.amdhsa_group_segment_fixed_size 26400
		.amdhsa_private_segment_fixed_size 0
		.amdhsa_kernarg_size 104
		.amdhsa_user_sgpr_count 6
		.amdhsa_user_sgpr_private_segment_buffer 1
		.amdhsa_user_sgpr_dispatch_ptr 0
		.amdhsa_user_sgpr_queue_ptr 0
		.amdhsa_user_sgpr_kernarg_segment_ptr 1
		.amdhsa_user_sgpr_dispatch_id 0
		.amdhsa_user_sgpr_flat_scratch_init 0
		.amdhsa_user_sgpr_kernarg_preload_length 0
		.amdhsa_user_sgpr_kernarg_preload_offset 0
		.amdhsa_user_sgpr_private_segment_size 0
		.amdhsa_uses_dynamic_stack 0
		.amdhsa_system_sgpr_private_segment_wavefront_offset 0
		.amdhsa_system_sgpr_workgroup_id_x 1
		.amdhsa_system_sgpr_workgroup_id_y 0
		.amdhsa_system_sgpr_workgroup_id_z 0
		.amdhsa_system_sgpr_workgroup_info 0
		.amdhsa_system_vgpr_workitem_id 0
		.amdhsa_next_free_vgpr 439
		.amdhsa_next_free_sgpr 42
		.amdhsa_accum_offset 256
		.amdhsa_reserve_vcc 1
		.amdhsa_reserve_flat_scratch 0
		.amdhsa_float_round_mode_32 0
		.amdhsa_float_round_mode_16_64 0
		.amdhsa_float_denorm_mode_32 3
		.amdhsa_float_denorm_mode_16_64 3
		.amdhsa_dx10_clamp 1
		.amdhsa_ieee_mode 1
		.amdhsa_fp16_overflow 0
		.amdhsa_tg_split 0
		.amdhsa_exception_fp_ieee_invalid_op 0
		.amdhsa_exception_fp_denorm_src 0
		.amdhsa_exception_fp_ieee_div_zero 0
		.amdhsa_exception_fp_ieee_overflow 0
		.amdhsa_exception_fp_ieee_underflow 0
		.amdhsa_exception_fp_ieee_inexact 0
		.amdhsa_exception_int_div_zero 0
	.end_amdhsa_kernel
	.text
.Lfunc_end0:
	.size	bluestein_single_back_len1650_dim1_dp_op_CI_CI, .Lfunc_end0-bluestein_single_back_len1650_dim1_dp_op_CI_CI
                                        ; -- End function
	.section	.AMDGPU.csdata,"",@progbits
; Kernel info:
; codeLenInByte = 31212
; NumSgprs: 46
; NumVgprs: 256
; NumAgprs: 183
; TotalNumVgprs: 439
; ScratchSize: 0
; MemoryBound: 0
; FloatMode: 240
; IeeeMode: 1
; LDSByteSize: 26400 bytes/workgroup (compile time only)
; SGPRBlocks: 5
; VGPRBlocks: 54
; NumSGPRsForWavesPerEU: 46
; NumVGPRsForWavesPerEU: 439
; AccumOffset: 256
; Occupancy: 1
; WaveLimiterHint : 1
; COMPUTE_PGM_RSRC2:SCRATCH_EN: 0
; COMPUTE_PGM_RSRC2:USER_SGPR: 6
; COMPUTE_PGM_RSRC2:TRAP_HANDLER: 0
; COMPUTE_PGM_RSRC2:TGID_X_EN: 1
; COMPUTE_PGM_RSRC2:TGID_Y_EN: 0
; COMPUTE_PGM_RSRC2:TGID_Z_EN: 0
; COMPUTE_PGM_RSRC2:TIDIG_COMP_CNT: 0
; COMPUTE_PGM_RSRC3_GFX90A:ACCUM_OFFSET: 63
; COMPUTE_PGM_RSRC3_GFX90A:TG_SPLIT: 0
	.text
	.p2alignl 6, 3212836864
	.fill 256, 4, 3212836864
	.type	__hip_cuid_82727ea30c9a54ff,@object ; @__hip_cuid_82727ea30c9a54ff
	.section	.bss,"aw",@nobits
	.globl	__hip_cuid_82727ea30c9a54ff
__hip_cuid_82727ea30c9a54ff:
	.byte	0                               ; 0x0
	.size	__hip_cuid_82727ea30c9a54ff, 1

	.ident	"AMD clang version 19.0.0git (https://github.com/RadeonOpenCompute/llvm-project roc-6.4.0 25133 c7fe45cf4b819c5991fe208aaa96edf142730f1d)"
	.section	".note.GNU-stack","",@progbits
	.addrsig
	.addrsig_sym __hip_cuid_82727ea30c9a54ff
	.amdgpu_metadata
---
amdhsa.kernels:
  - .agpr_count:     183
    .args:
      - .actual_access:  read_only
        .address_space:  global
        .offset:         0
        .size:           8
        .value_kind:     global_buffer
      - .actual_access:  read_only
        .address_space:  global
        .offset:         8
        .size:           8
        .value_kind:     global_buffer
      - .actual_access:  read_only
        .address_space:  global
        .offset:         16
        .size:           8
        .value_kind:     global_buffer
      - .actual_access:  read_only
        .address_space:  global
        .offset:         24
        .size:           8
        .value_kind:     global_buffer
      - .actual_access:  read_only
        .address_space:  global
        .offset:         32
        .size:           8
        .value_kind:     global_buffer
      - .offset:         40
        .size:           8
        .value_kind:     by_value
      - .address_space:  global
        .offset:         48
        .size:           8
        .value_kind:     global_buffer
      - .address_space:  global
        .offset:         56
        .size:           8
        .value_kind:     global_buffer
      - .address_space:  global
        .offset:         64
        .size:           8
        .value_kind:     global_buffer
      - .address_space:  global
        .offset:         72
        .size:           8
        .value_kind:     global_buffer
      - .offset:         80
        .size:           4
        .value_kind:     by_value
      - .address_space:  global
        .offset:         88
        .size:           8
        .value_kind:     global_buffer
      - .address_space:  global
        .offset:         96
        .size:           8
        .value_kind:     global_buffer
    .group_segment_fixed_size: 26400
    .kernarg_segment_align: 8
    .kernarg_segment_size: 104
    .language:       OpenCL C
    .language_version:
      - 2
      - 0
    .max_flat_workgroup_size: 110
    .name:           bluestein_single_back_len1650_dim1_dp_op_CI_CI
    .private_segment_fixed_size: 0
    .sgpr_count:     46
    .sgpr_spill_count: 0
    .symbol:         bluestein_single_back_len1650_dim1_dp_op_CI_CI.kd
    .uniform_work_group_size: 1
    .uses_dynamic_stack: false
    .vgpr_count:     439
    .vgpr_spill_count: 0
    .wavefront_size: 64
amdhsa.target:   amdgcn-amd-amdhsa--gfx90a
amdhsa.version:
  - 1
  - 2
...

	.end_amdgpu_metadata
